;; amdgpu-corpus repo=ROCm/rocFFT kind=compiled arch=gfx1100 opt=O3
	.text
	.amdgcn_target "amdgcn-amd-amdhsa--gfx1100"
	.amdhsa_code_object_version 6
	.protected	fft_rtc_fwd_len289_factors_17_17_wgs_119_tpt_17_dp_op_CI_CI_sbcc_twdbase8_2step_dirReg_intrinsicReadWrite ; -- Begin function fft_rtc_fwd_len289_factors_17_17_wgs_119_tpt_17_dp_op_CI_CI_sbcc_twdbase8_2step_dirReg_intrinsicReadWrite
	.globl	fft_rtc_fwd_len289_factors_17_17_wgs_119_tpt_17_dp_op_CI_CI_sbcc_twdbase8_2step_dirReg_intrinsicReadWrite
	.p2align	8
	.type	fft_rtc_fwd_len289_factors_17_17_wgs_119_tpt_17_dp_op_CI_CI_sbcc_twdbase8_2step_dirReg_intrinsicReadWrite,@function
fft_rtc_fwd_len289_factors_17_17_wgs_119_tpt_17_dp_op_CI_CI_sbcc_twdbase8_2step_dirReg_intrinsicReadWrite: ; @fft_rtc_fwd_len289_factors_17_17_wgs_119_tpt_17_dp_op_CI_CI_sbcc_twdbase8_2step_dirReg_intrinsicReadWrite
; %bb.0:
	s_clause 0x1
	s_load_b128 s[16:19], s[0:1], 0x18
	s_load_b64 s[26:27], s[0:1], 0x28
	v_mov_b32_e32 v255, v0
	s_mov_b32 s28, s15
	s_mov_b32 s29, 0
	s_mov_b64 s[20:21], 0
	s_waitcnt lgkmcnt(0)
	s_load_b64 s[24:25], s[16:17], 0x8
	s_waitcnt lgkmcnt(0)
	s_add_u32 s2, s24, -1
	s_addc_u32 s3, s25, -1
	s_add_u32 s4, 0, 0x92481000
	s_addc_u32 s5, 0, 0x64
	s_mul_hi_u32 s7, s4, -7
	s_add_i32 s5, s5, 0x249248c0
	s_sub_i32 s7, s7, s4
	s_mul_i32 s9, s5, -7
	s_mul_i32 s6, s4, -7
	s_add_i32 s7, s7, s9
	s_mul_hi_u32 s8, s4, s6
	s_mul_i32 s11, s4, s7
	s_mul_hi_u32 s9, s4, s7
	s_mul_hi_u32 s10, s5, s6
	s_mul_i32 s6, s5, s6
	s_add_u32 s8, s8, s11
	s_addc_u32 s9, 0, s9
	s_mul_hi_u32 s12, s5, s7
	s_add_u32 s6, s8, s6
	s_mul_i32 s7, s5, s7
	s_addc_u32 s6, s9, s10
	s_addc_u32 s8, s12, 0
	s_add_u32 s6, s6, s7
	s_delay_alu instid0(SALU_CYCLE_1) | instskip(SKIP_3) | instid1(VALU_DEP_1)
	v_add_co_u32 v0, s4, s4, s6
	s_addc_u32 s6, 0, s8
	s_cmp_lg_u32 s4, 0
	s_addc_u32 s4, s5, s6
	v_readfirstlane_b32 s5, v0
	s_mul_i32 s7, s2, s4
	s_mul_hi_u32 s6, s2, s4
	s_mul_hi_u32 s8, s3, s4
	s_mul_i32 s4, s3, s4
	s_mul_hi_u32 s9, s2, s5
	s_mul_hi_u32 s10, s3, s5
	s_mul_i32 s5, s3, s5
	s_add_u32 s7, s9, s7
	s_addc_u32 s6, 0, s6
	s_add_u32 s5, s7, s5
	s_addc_u32 s5, s6, s10
	s_addc_u32 s6, s8, 0
	s_add_u32 s4, s5, s4
	s_addc_u32 s5, 0, s6
	s_mul_i32 s7, s4, 7
	s_add_u32 s6, s4, 1
	v_sub_co_u32 v0, s2, s2, s7
	s_mul_hi_u32 s7, s4, 7
	s_addc_u32 s8, s5, 0
	s_mul_i32 s9, s5, 7
	s_delay_alu instid0(VALU_DEP_1)
	v_sub_co_u32 v1, s10, v0, 7
	s_add_u32 s11, s4, 2
	s_addc_u32 s12, s5, 0
	s_add_i32 s7, s7, s9
	s_cmp_lg_u32 s2, 0
	v_readfirstlane_b32 s2, v1
	s_subb_u32 s3, s3, s7
	s_cmp_lg_u32 s10, 0
	s_subb_u32 s7, s3, 0
	s_delay_alu instid0(VALU_DEP_1) | instskip(SKIP_4) | instid1(SALU_CYCLE_1)
	s_cmp_gt_u32 s2, 6
	s_cselect_b32 s2, -1, 0
	s_cmp_eq_u32 s7, 0
	v_readfirstlane_b32 s7, v0
	s_cselect_b32 s2, s2, -1
	s_cmp_lg_u32 s2, 0
	s_cselect_b32 s2, s11, s6
	s_cselect_b32 s6, s12, s8
	s_cmp_gt_u32 s7, 6
	s_cselect_b32 s7, -1, 0
	s_cmp_eq_u32 s3, 0
	s_cselect_b32 s3, s7, -1
	s_delay_alu instid0(SALU_CYCLE_1) | instskip(SKIP_4) | instid1(SALU_CYCLE_1)
	s_cmp_lg_u32 s3, 0
	s_cselect_b32 s2, s2, s4
	s_cselect_b32 s3, s6, s5
	s_add_u32 s30, s2, 1
	s_addc_u32 s31, s3, 0
	v_cmp_lt_u64_e64 s2, s[28:29], s[30:31]
	s_delay_alu instid0(VALU_DEP_1)
	s_and_b32 vcc_lo, exec_lo, s2
	s_cbranch_vccnz .LBB0_2
; %bb.1:
	v_cvt_f32_u32_e32 v0, s30
	s_sub_i32 s3, 0, s30
	s_mov_b32 s21, s29
	s_delay_alu instid0(VALU_DEP_1) | instskip(SKIP_2) | instid1(VALU_DEP_1)
	v_rcp_iflag_f32_e32 v0, v0
	s_waitcnt_depctr 0xfff
	v_mul_f32_e32 v0, 0x4f7ffffe, v0
	v_cvt_u32_f32_e32 v0, v0
	s_delay_alu instid0(VALU_DEP_1) | instskip(NEXT) | instid1(VALU_DEP_1)
	v_readfirstlane_b32 s2, v0
	s_mul_i32 s3, s3, s2
	s_delay_alu instid0(SALU_CYCLE_1) | instskip(NEXT) | instid1(SALU_CYCLE_1)
	s_mul_hi_u32 s3, s2, s3
	s_add_i32 s2, s2, s3
	s_delay_alu instid0(SALU_CYCLE_1) | instskip(NEXT) | instid1(SALU_CYCLE_1)
	s_mul_hi_u32 s2, s28, s2
	s_mul_i32 s3, s2, s30
	s_add_i32 s4, s2, 1
	s_sub_i32 s3, s28, s3
	s_delay_alu instid0(SALU_CYCLE_1)
	s_sub_i32 s5, s3, s30
	s_cmp_ge_u32 s3, s30
	s_cselect_b32 s2, s4, s2
	s_cselect_b32 s3, s5, s3
	s_add_i32 s4, s2, 1
	s_cmp_ge_u32 s3, s30
	s_cselect_b32 s20, s4, s2
.LBB0_2:
	s_load_b128 s[12:15], s[18:19], 0x0
	s_load_b128 s[4:7], s[26:27], 0x0
	s_clause 0x1
	s_load_b128 s[8:11], s[0:1], 0x8
	s_load_b64 s[22:23], s[0:1], 0x0
	s_mul_i32 s2, s20, s31
	s_mul_hi_u32 s3, s20, s30
	s_waitcnt lgkmcnt(0)
	s_mul_i32 s5, s20, s30
	s_add_i32 s3, s3, s2
	s_sub_u32 s33, s28, s5
	s_subb_u32 s2, 0, s3
	s_mul_hi_u32 s13, s33, 7
	s_mul_i32 s5, s2, 7
	s_load_b128 s[0:3], s[0:1], 0x60
	s_add_i32 s13, s13, s5
	s_mul_i32 s33, s33, 7
	s_mul_i32 s5, s14, s13
	s_mul_hi_u32 s34, s14, s33
	v_cmp_lt_u64_e64 s39, s[10:11], 3
	s_mul_i32 s36, s6, s13
	s_mul_hi_u32 s37, s6, s33
	s_mul_i32 s35, s15, s33
	s_mul_i32 s38, s7, s33
	s_add_i32 s5, s34, s5
	s_add_i32 s34, s37, s36
	;; [unrolled: 1-line block ×3, first 2 shown]
	s_mul_i32 s7, s14, s33
	s_add_i32 s47, s34, s38
	s_and_b32 vcc_lo, exec_lo, s39
	s_mul_i32 s5, s6, s33
	s_cbranch_vccnz .LBB0_12
; %bb.3:
	s_add_u32 s34, s26, 16
	s_addc_u32 s35, s27, 0
	s_add_u32 s36, s18, 16
	s_addc_u32 s37, s19, 0
	;; [unrolled: 2-line block ×3, first 2 shown]
	s_mov_b64 s[38:39], 2
	s_mov_b32 s40, 0
.LBB0_4:                                ; =>This Inner Loop Header: Depth=1
	s_load_b64 s[42:43], s[16:17], 0x0
	s_waitcnt lgkmcnt(0)
	s_or_b64 s[44:45], s[20:21], s[42:43]
	s_delay_alu instid0(SALU_CYCLE_1) | instskip(NEXT) | instid1(SALU_CYCLE_1)
	s_mov_b32 s41, s45
                                        ; implicit-def: $sgpr44_sgpr45
	s_cmp_lg_u64 s[40:41], 0
	s_mov_b32 s41, -1
	s_cbranch_scc0 .LBB0_6
; %bb.5:                                ;   in Loop: Header=BB0_4 Depth=1
	v_cvt_f32_u32_e32 v0, s42
	v_cvt_f32_u32_e32 v1, s43
	s_sub_u32 s45, 0, s42
	s_subb_u32 s48, 0, s43
	s_delay_alu instid0(VALU_DEP_1) | instskip(NEXT) | instid1(VALU_DEP_1)
	v_fmac_f32_e32 v0, 0x4f800000, v1
	v_rcp_f32_e32 v0, v0
	s_waitcnt_depctr 0xfff
	v_mul_f32_e32 v0, 0x5f7ffffc, v0
	s_delay_alu instid0(VALU_DEP_1) | instskip(NEXT) | instid1(VALU_DEP_1)
	v_mul_f32_e32 v1, 0x2f800000, v0
	v_trunc_f32_e32 v1, v1
	s_delay_alu instid0(VALU_DEP_1) | instskip(SKIP_1) | instid1(VALU_DEP_2)
	v_fmac_f32_e32 v0, 0xcf800000, v1
	v_cvt_u32_f32_e32 v1, v1
	v_cvt_u32_f32_e32 v0, v0
	s_delay_alu instid0(VALU_DEP_2) | instskip(NEXT) | instid1(VALU_DEP_2)
	v_readfirstlane_b32 s41, v1
	v_readfirstlane_b32 s44, v0
	s_delay_alu instid0(VALU_DEP_2) | instskip(NEXT) | instid1(VALU_DEP_1)
	s_mul_i32 s49, s45, s41
	s_mul_hi_u32 s51, s45, s44
	s_mul_i32 s50, s48, s44
	s_add_i32 s49, s51, s49
	s_mul_i32 s52, s45, s44
	s_add_i32 s49, s49, s50
	s_mul_hi_u32 s51, s44, s52
	s_mul_hi_u32 s53, s41, s52
	s_mul_i32 s50, s41, s52
	s_mul_hi_u32 s52, s44, s49
	s_mul_i32 s44, s44, s49
	s_mul_hi_u32 s54, s41, s49
	s_add_u32 s44, s51, s44
	s_addc_u32 s51, 0, s52
	s_add_u32 s44, s44, s50
	s_mul_i32 s49, s41, s49
	s_addc_u32 s44, s51, s53
	s_addc_u32 s50, s54, 0
	s_add_u32 s44, s44, s49
	s_addc_u32 s49, 0, s50
	v_add_co_u32 v0, s44, v0, s44
	s_delay_alu instid0(VALU_DEP_1) | instskip(SKIP_1) | instid1(VALU_DEP_1)
	s_cmp_lg_u32 s44, 0
	s_addc_u32 s41, s41, s49
	v_readfirstlane_b32 s44, v0
	s_mul_i32 s49, s45, s41
	s_delay_alu instid0(VALU_DEP_1)
	s_mul_hi_u32 s50, s45, s44
	s_mul_i32 s48, s48, s44
	s_add_i32 s49, s50, s49
	s_mul_i32 s45, s45, s44
	s_add_i32 s49, s49, s48
	s_mul_hi_u32 s50, s41, s45
	s_mul_i32 s51, s41, s45
	s_mul_hi_u32 s45, s44, s45
	s_mul_hi_u32 s52, s44, s49
	s_mul_i32 s44, s44, s49
	s_mul_hi_u32 s48, s41, s49
	s_add_u32 s44, s45, s44
	s_addc_u32 s45, 0, s52
	s_add_u32 s44, s44, s51
	s_mul_i32 s49, s41, s49
	s_addc_u32 s44, s45, s50
	s_addc_u32 s45, s48, 0
	s_add_u32 s44, s44, s49
	s_addc_u32 s45, 0, s45
	v_add_co_u32 v0, s44, v0, s44
	s_delay_alu instid0(VALU_DEP_1) | instskip(SKIP_1) | instid1(VALU_DEP_1)
	s_cmp_lg_u32 s44, 0
	s_addc_u32 s41, s41, s45
	v_readfirstlane_b32 s44, v0
	s_mul_i32 s48, s20, s41
	s_mul_hi_u32 s45, s20, s41
	s_mul_hi_u32 s49, s21, s41
	s_mul_i32 s41, s21, s41
	s_mul_hi_u32 s50, s20, s44
	s_mul_hi_u32 s51, s21, s44
	s_mul_i32 s44, s21, s44
	s_add_u32 s48, s50, s48
	s_addc_u32 s45, 0, s45
	s_add_u32 s44, s48, s44
	s_addc_u32 s44, s45, s51
	s_addc_u32 s45, s49, 0
	s_add_u32 s44, s44, s41
	s_addc_u32 s45, 0, s45
	s_mul_hi_u32 s41, s42, s44
	s_mul_i32 s49, s42, s45
	s_mul_i32 s50, s42, s44
	s_add_i32 s41, s41, s49
	v_sub_co_u32 v0, s49, s20, s50
	s_mul_i32 s48, s43, s44
	s_delay_alu instid0(SALU_CYCLE_1) | instskip(NEXT) | instid1(VALU_DEP_1)
	s_add_i32 s41, s41, s48
	v_sub_co_u32 v1, s50, v0, s42
	s_sub_i32 s48, s21, s41
	s_cmp_lg_u32 s49, 0
	s_subb_u32 s48, s48, s43
	s_cmp_lg_u32 s50, 0
	v_readfirstlane_b32 s50, v1
	s_subb_u32 s48, s48, 0
	s_delay_alu instid0(SALU_CYCLE_1) | instskip(SKIP_1) | instid1(VALU_DEP_1)
	s_cmp_ge_u32 s48, s43
	s_cselect_b32 s51, -1, 0
	s_cmp_ge_u32 s50, s42
	s_cselect_b32 s50, -1, 0
	s_cmp_eq_u32 s48, s43
	s_cselect_b32 s48, s50, s51
	s_add_u32 s50, s44, 1
	s_addc_u32 s51, s45, 0
	s_add_u32 s52, s44, 2
	s_addc_u32 s53, s45, 0
	s_cmp_lg_u32 s48, 0
	s_cselect_b32 s48, s52, s50
	s_cselect_b32 s50, s53, s51
	s_cmp_lg_u32 s49, 0
	v_readfirstlane_b32 s49, v0
	s_subb_u32 s41, s21, s41
	s_delay_alu instid0(SALU_CYCLE_1) | instskip(SKIP_1) | instid1(VALU_DEP_1)
	s_cmp_ge_u32 s41, s43
	s_cselect_b32 s51, -1, 0
	s_cmp_ge_u32 s49, s42
	s_cselect_b32 s49, -1, 0
	s_cmp_eq_u32 s41, s43
	s_cselect_b32 s41, s49, s51
	s_delay_alu instid0(SALU_CYCLE_1)
	s_cmp_lg_u32 s41, 0
	s_mov_b32 s41, 0
	s_cselect_b32 s45, s50, s45
	s_cselect_b32 s44, s48, s44
.LBB0_6:                                ;   in Loop: Header=BB0_4 Depth=1
	s_and_not1_b32 vcc_lo, exec_lo, s41
	s_cbranch_vccnz .LBB0_8
; %bb.7:                                ;   in Loop: Header=BB0_4 Depth=1
	v_cvt_f32_u32_e32 v0, s42
	s_sub_i32 s44, 0, s42
	s_waitcnt_depctr 0xfff
	v_rcp_iflag_f32_e32 v0, v0
	s_waitcnt_depctr 0xfff
	v_mul_f32_e32 v0, 0x4f7ffffe, v0
	s_delay_alu instid0(VALU_DEP_1) | instskip(NEXT) | instid1(VALU_DEP_1)
	v_cvt_u32_f32_e32 v0, v0
	v_readfirstlane_b32 s41, v0
	s_delay_alu instid0(VALU_DEP_1) | instskip(NEXT) | instid1(SALU_CYCLE_1)
	s_mul_i32 s44, s44, s41
	s_mul_hi_u32 s44, s41, s44
	s_delay_alu instid0(SALU_CYCLE_1) | instskip(NEXT) | instid1(SALU_CYCLE_1)
	s_add_i32 s41, s41, s44
	s_mul_hi_u32 s41, s20, s41
	s_delay_alu instid0(SALU_CYCLE_1) | instskip(SKIP_2) | instid1(SALU_CYCLE_1)
	s_mul_i32 s44, s41, s42
	s_add_i32 s45, s41, 1
	s_sub_i32 s44, s20, s44
	s_sub_i32 s48, s44, s42
	s_cmp_ge_u32 s44, s42
	s_cselect_b32 s41, s45, s41
	s_cselect_b32 s44, s48, s44
	s_add_i32 s45, s41, 1
	s_cmp_ge_u32 s44, s42
	s_cselect_b32 s44, s45, s41
	s_mov_b32 s45, s40
.LBB0_8:                                ;   in Loop: Header=BB0_4 Depth=1
	s_load_b64 s[48:49], s[36:37], 0x0
	s_load_b64 s[50:51], s[34:35], 0x0
	s_mul_i32 s31, s42, s31
	s_mul_hi_u32 s41, s42, s30
	s_mul_i32 s52, s43, s30
	s_mul_i32 s43, s44, s43
	s_mul_hi_u32 s53, s44, s42
	s_mul_i32 s54, s45, s42
	s_add_i32 s31, s41, s31
	s_add_i32 s41, s53, s43
	s_mul_i32 s55, s44, s42
	s_add_i32 s31, s31, s52
	s_add_i32 s41, s41, s54
	s_sub_u32 s20, s20, s55
	s_subb_u32 s21, s21, s41
	s_mul_i32 s30, s42, s30
	s_waitcnt lgkmcnt(0)
	s_mul_i32 s41, s48, s21
	s_mul_hi_u32 s43, s48, s20
	s_mul_i32 s49, s49, s20
	s_add_i32 s41, s43, s41
	s_mul_i32 s48, s48, s20
	s_mul_i32 s21, s50, s21
	s_mul_hi_u32 s43, s50, s20
	s_add_i32 s41, s41, s49
	s_add_u32 s7, s48, s7
	s_addc_u32 s46, s41, s46
	s_add_i32 s21, s43, s21
	s_mul_i32 s41, s51, s20
	s_mul_i32 s20, s50, s20
	s_add_i32 s21, s21, s41
	s_add_u32 s5, s20, s5
	s_addc_u32 s47, s21, s47
	s_add_u32 s38, s38, 1
	s_addc_u32 s39, s39, 0
	s_add_u32 s34, s34, 8
	v_cmp_ge_u64_e64 s20, s[38:39], s[10:11]
	s_addc_u32 s35, s35, 0
	s_add_u32 s36, s36, 8
	s_addc_u32 s37, s37, 0
	s_add_u32 s16, s16, 8
	s_addc_u32 s17, s17, 0
	s_and_b32 vcc_lo, exec_lo, s20
	s_cbranch_vccnz .LBB0_10
; %bb.9:                                ;   in Loop: Header=BB0_4 Depth=1
	s_mov_b64 s[20:21], s[44:45]
	s_branch .LBB0_4
.LBB0_10:
	v_cmp_lt_u64_e64 s16, s[28:29], s[30:31]
	s_mov_b64 s[20:21], 0
	s_delay_alu instid0(VALU_DEP_1)
	s_and_b32 vcc_lo, exec_lo, s16
	s_cbranch_vccnz .LBB0_12
; %bb.11:
	v_cvt_f32_u32_e32 v0, s30
	s_sub_i32 s17, 0, s30
	s_delay_alu instid0(VALU_DEP_1) | instskip(SKIP_2) | instid1(VALU_DEP_1)
	v_rcp_iflag_f32_e32 v0, v0
	s_waitcnt_depctr 0xfff
	v_mul_f32_e32 v0, 0x4f7ffffe, v0
	v_cvt_u32_f32_e32 v0, v0
	s_delay_alu instid0(VALU_DEP_1) | instskip(NEXT) | instid1(VALU_DEP_1)
	v_readfirstlane_b32 s16, v0
	s_mul_i32 s17, s17, s16
	s_delay_alu instid0(SALU_CYCLE_1) | instskip(NEXT) | instid1(SALU_CYCLE_1)
	s_mul_hi_u32 s17, s16, s17
	s_add_i32 s16, s16, s17
	s_delay_alu instid0(SALU_CYCLE_1) | instskip(NEXT) | instid1(SALU_CYCLE_1)
	s_mul_hi_u32 s16, s28, s16
	s_mul_i32 s17, s16, s30
	s_add_i32 s20, s16, 1
	s_sub_i32 s17, s28, s17
	s_delay_alu instid0(SALU_CYCLE_1)
	s_sub_i32 s21, s17, s30
	s_cmp_ge_u32 s17, s30
	s_cselect_b32 s16, s20, s16
	s_cselect_b32 s17, s21, s17
	s_add_i32 s20, s16, 1
	s_cmp_ge_u32 s17, s30
	s_cselect_b32 s20, s20, s16
.LBB0_12:
	v_mul_u32_u24_e32 v0, 0x2493, v255
	s_lshl_b64 s[16:17], s[10:11], 3
	v_mov_b32_e32 v7, 0
	s_add_u32 s10, s18, s16
	s_addc_u32 s11, s19, s17
	v_lshrrev_b32_e32 v190, 16, v0
	s_load_b64 s[10:11], s[10:11], 0x0
	v_mov_b32_e32 v8, 0
	s_delay_alu instid0(VALU_DEP_2) | instskip(NEXT) | instid1(VALU_DEP_1)
	v_mul_lo_u16 v0, v190, 7
	v_sub_nc_u16 v0, v255, v0
	s_delay_alu instid0(VALU_DEP_1) | instskip(NEXT) | instid1(VALU_DEP_1)
	v_and_b32_e32 v0, 0xffff, v0
	v_mad_u64_u32 v[71:72], null, s14, v0, 0
	s_waitcnt lgkmcnt(0)
	s_mul_i32 s10, s10, s20
	s_delay_alu instid0(SALU_CYCLE_1) | instskip(SKIP_3) | instid1(VALU_DEP_1)
	s_add_u32 s10, s10, s7
	s_add_u32 s62, s26, s16
	s_addc_u32 s63, s27, s17
	s_add_u32 s16, s33, 7
	v_mov_b32_e32 v1, v72
	v_add_co_u32 v69, s11, s33, v0
	s_delay_alu instid0(VALU_DEP_1) | instskip(SKIP_1) | instid1(VALU_DEP_3)
	v_add_co_ci_u32_e64 v70, null, s13, 0, s11
	s_addc_u32 s17, s13, 0
	v_mad_u64_u32 v[2:3], null, s15, v0, v[1:2]
	v_cmp_le_u64_e64 s7, s[16:17], s[24:25]
	s_delay_alu instid0(VALU_DEP_3) | instskip(SKIP_4) | instid1(SALU_CYCLE_1)
	v_cmp_gt_u64_e32 vcc_lo, s[24:25], v[69:70]
	v_dual_mov_b32 v3, v7 :: v_dual_mov_b32 v4, v8
	v_dual_mov_b32 v1, v7 :: v_dual_mov_b32 v2, v8
	scratch_store_b32 off, v0, off          ; 4-byte Folded Spill
	s_or_b32 s7, s7, vcc_lo
	s_and_saveexec_b32 s11, s7
	s_cbranch_execz .LBB0_14
; %bb.13:
	v_mul_lo_u32 v0, s12, v190
	v_mov_b32_e32 v2, 0
	s_delay_alu instid0(VALU_DEP_2) | instskip(NEXT) | instid1(VALU_DEP_1)
	v_add3_u32 v1, s10, v71, v0
	v_lshlrev_b64 v[1:2], 4, v[1:2]
	s_delay_alu instid0(VALU_DEP_1) | instskip(NEXT) | instid1(VALU_DEP_2)
	v_add_co_u32 v1, vcc_lo, s0, v1
	v_add_co_ci_u32_e32 v2, vcc_lo, s1, v2, vcc_lo
	global_load_b128 v[1:4], v[1:2], off
.LBB0_14:
	s_or_b32 exec_lo, exec_lo, s11
	v_dual_mov_b32 v5, v7 :: v_dual_mov_b32 v6, v8
	s_and_saveexec_b32 s11, s7
	s_cbranch_execz .LBB0_16
; %bb.15:
	v_add_nc_u32_e32 v0, 17, v190
	v_mov_b32_e32 v6, 0
	s_delay_alu instid0(VALU_DEP_2) | instskip(NEXT) | instid1(VALU_DEP_1)
	v_mul_lo_u32 v0, s12, v0
	v_add3_u32 v5, s10, v71, v0
	s_delay_alu instid0(VALU_DEP_1) | instskip(NEXT) | instid1(VALU_DEP_1)
	v_lshlrev_b64 v[5:6], 4, v[5:6]
	v_add_co_u32 v5, vcc_lo, s0, v5
	s_delay_alu instid0(VALU_DEP_2)
	v_add_co_ci_u32_e32 v6, vcc_lo, s1, v6, vcc_lo
	global_load_b128 v[5:8], v[5:6], off
.LBB0_16:
	s_or_b32 exec_lo, exec_lo, s11
	v_mov_b32_e32 v15, 0
	v_mov_b32_e32 v16, 0
	s_delay_alu instid0(VALU_DEP_2) | instskip(NEXT) | instid1(VALU_DEP_2)
	v_mov_b32_e32 v11, v15
	v_dual_mov_b32 v9, v15 :: v_dual_mov_b32 v10, v16
	v_mov_b32_e32 v12, v16
	s_and_saveexec_b32 s11, s7
	s_cbranch_execz .LBB0_18
; %bb.17:
	v_add_nc_u32_e32 v0, 34, v190
	v_mov_b32_e32 v10, 0
	s_delay_alu instid0(VALU_DEP_2) | instskip(NEXT) | instid1(VALU_DEP_1)
	v_mul_lo_u32 v0, s12, v0
	v_add3_u32 v9, s10, v71, v0
	s_delay_alu instid0(VALU_DEP_1) | instskip(NEXT) | instid1(VALU_DEP_1)
	v_lshlrev_b64 v[9:10], 4, v[9:10]
	v_add_co_u32 v9, vcc_lo, s0, v9
	s_delay_alu instid0(VALU_DEP_2)
	v_add_co_ci_u32_e32 v10, vcc_lo, s1, v10, vcc_lo
	global_load_b128 v[9:12], v[9:10], off
.LBB0_18:
	s_or_b32 exec_lo, exec_lo, s11
	v_dual_mov_b32 v13, v15 :: v_dual_mov_b32 v14, v16
	s_and_saveexec_b32 s11, s7
	s_cbranch_execz .LBB0_20
; %bb.19:
	v_add_nc_u32_e32 v0, 51, v190
	v_mov_b32_e32 v14, 0
	s_delay_alu instid0(VALU_DEP_2) | instskip(NEXT) | instid1(VALU_DEP_1)
	v_mul_lo_u32 v0, s12, v0
	v_add3_u32 v13, s10, v71, v0
	s_delay_alu instid0(VALU_DEP_1) | instskip(NEXT) | instid1(VALU_DEP_1)
	v_lshlrev_b64 v[13:14], 4, v[13:14]
	v_add_co_u32 v13, vcc_lo, s0, v13
	s_delay_alu instid0(VALU_DEP_2)
	v_add_co_ci_u32_e32 v14, vcc_lo, s1, v14, vcc_lo
	global_load_b128 v[13:16], v[13:14], off
.LBB0_20:
	s_or_b32 exec_lo, exec_lo, s11
	v_mov_b32_e32 v23, 0
	v_mov_b32_e32 v24, 0
	s_delay_alu instid0(VALU_DEP_2) | instskip(NEXT) | instid1(VALU_DEP_2)
	v_mov_b32_e32 v19, v23
	v_dual_mov_b32 v17, v23 :: v_dual_mov_b32 v18, v24
	v_mov_b32_e32 v20, v24
	s_and_saveexec_b32 s11, s7
	s_cbranch_execz .LBB0_22
; %bb.21:
	v_add_nc_u32_e32 v0, 0x44, v190
	v_mov_b32_e32 v18, 0
	s_delay_alu instid0(VALU_DEP_2) | instskip(NEXT) | instid1(VALU_DEP_1)
	v_mul_lo_u32 v0, s12, v0
	v_add3_u32 v17, s10, v71, v0
	s_delay_alu instid0(VALU_DEP_1) | instskip(NEXT) | instid1(VALU_DEP_1)
	v_lshlrev_b64 v[17:18], 4, v[17:18]
	v_add_co_u32 v17, vcc_lo, s0, v17
	s_delay_alu instid0(VALU_DEP_2)
	v_add_co_ci_u32_e32 v18, vcc_lo, s1, v18, vcc_lo
	global_load_b128 v[17:20], v[17:18], off
.LBB0_22:
	;; [unrolled: 39-line block ×3, first 2 shown]
	s_or_b32 exec_lo, exec_lo, s11
	v_dual_mov_b32 v29, v31 :: v_dual_mov_b32 v30, v32
	s_and_saveexec_b32 s11, s7
	s_cbranch_execz .LBB0_28
; %bb.27:
	v_add_nc_u32_e32 v0, 0x77, v190
	v_mov_b32_e32 v30, 0
	s_delay_alu instid0(VALU_DEP_2) | instskip(NEXT) | instid1(VALU_DEP_1)
	v_mul_lo_u32 v0, s12, v0
	v_add3_u32 v29, s10, v71, v0
	s_delay_alu instid0(VALU_DEP_1) | instskip(NEXT) | instid1(VALU_DEP_1)
	v_lshlrev_b64 v[29:30], 4, v[29:30]
	v_add_co_u32 v29, vcc_lo, s0, v29
	s_delay_alu instid0(VALU_DEP_2)
	v_add_co_ci_u32_e32 v30, vcc_lo, s1, v30, vcc_lo
	global_load_b128 v[29:32], v[29:30], off
.LBB0_28:
	s_or_b32 exec_lo, exec_lo, s11
	v_mov_b32_e32 v35, 0
	v_mov_b32_e32 v36, 0
	s_delay_alu instid0(VALU_DEP_1)
	v_dual_mov_b32 v40, v36 :: v_dual_mov_b32 v39, v35
	v_dual_mov_b32 v38, v36 :: v_dual_mov_b32 v37, v35
	s_and_saveexec_b32 s11, s7
	s_cbranch_execz .LBB0_30
; %bb.29:
	v_add_nc_u32_e32 v0, 0x88, v190
	v_mov_b32_e32 v34, 0
	s_delay_alu instid0(VALU_DEP_2) | instskip(NEXT) | instid1(VALU_DEP_1)
	v_mul_lo_u32 v0, s12, v0
	v_add3_u32 v33, s10, v71, v0
	s_delay_alu instid0(VALU_DEP_1) | instskip(NEXT) | instid1(VALU_DEP_1)
	v_lshlrev_b64 v[33:34], 4, v[33:34]
	v_add_co_u32 v33, vcc_lo, s0, v33
	s_delay_alu instid0(VALU_DEP_2)
	v_add_co_ci_u32_e32 v34, vcc_lo, s1, v34, vcc_lo
	global_load_b128 v[37:40], v[33:34], off
.LBB0_30:
	s_or_b32 exec_lo, exec_lo, s11
	v_dual_mov_b32 v33, v35 :: v_dual_mov_b32 v34, v36
	s_and_saveexec_b32 s11, s7
	s_cbranch_execz .LBB0_32
; %bb.31:
	v_add_nc_u32_e32 v0, 0x99, v190
	v_mov_b32_e32 v34, 0
	s_delay_alu instid0(VALU_DEP_2) | instskip(NEXT) | instid1(VALU_DEP_1)
	v_mul_lo_u32 v0, s12, v0
	v_add3_u32 v33, s10, v71, v0
	s_delay_alu instid0(VALU_DEP_1) | instskip(NEXT) | instid1(VALU_DEP_1)
	v_lshlrev_b64 v[33:34], 4, v[33:34]
	v_add_co_u32 v33, vcc_lo, s0, v33
	s_delay_alu instid0(VALU_DEP_2)
	v_add_co_ci_u32_e32 v34, vcc_lo, s1, v34, vcc_lo
	global_load_b128 v[33:36], v[33:34], off
.LBB0_32:
	s_or_b32 exec_lo, exec_lo, s11
	v_mov_b32_e32 v43, 0
	v_mov_b32_e32 v44, 0
	s_delay_alu instid0(VALU_DEP_1)
	v_dual_mov_b32 v48, v44 :: v_dual_mov_b32 v47, v43
	v_dual_mov_b32 v46, v44 :: v_dual_mov_b32 v45, v43
	s_and_saveexec_b32 s11, s7
	s_cbranch_execz .LBB0_34
; %bb.33:
	v_add_nc_u32_e32 v0, 0xaa, v190
	v_mov_b32_e32 v42, 0
	s_delay_alu instid0(VALU_DEP_2) | instskip(NEXT) | instid1(VALU_DEP_1)
	v_mul_lo_u32 v0, s12, v0
	v_add3_u32 v41, s10, v71, v0
	s_delay_alu instid0(VALU_DEP_1) | instskip(NEXT) | instid1(VALU_DEP_1)
	v_lshlrev_b64 v[41:42], 4, v[41:42]
	v_add_co_u32 v41, vcc_lo, s0, v41
	s_delay_alu instid0(VALU_DEP_2)
	v_add_co_ci_u32_e32 v42, vcc_lo, s1, v42, vcc_lo
	global_load_b128 v[45:48], v[41:42], off
.LBB0_34:
	;; [unrolled: 38-line block ×4, first 2 shown]
	s_or_b32 exec_lo, exec_lo, s11
	v_dual_mov_b32 v57, v59 :: v_dual_mov_b32 v58, v60
	s_and_saveexec_b32 s11, s7
	s_cbranch_execz .LBB0_44
; %bb.43:
	v_add_nc_u32_e32 v0, 0xff, v190
	v_mov_b32_e32 v58, 0
	s_delay_alu instid0(VALU_DEP_2) | instskip(NEXT) | instid1(VALU_DEP_1)
	v_mul_lo_u32 v0, s12, v0
	v_add3_u32 v57, s10, v71, v0
	s_delay_alu instid0(VALU_DEP_1) | instskip(NEXT) | instid1(VALU_DEP_1)
	v_lshlrev_b64 v[57:58], 4, v[57:58]
	v_add_co_u32 v57, vcc_lo, s0, v57
	s_delay_alu instid0(VALU_DEP_2)
	v_add_co_ci_u32_e32 v58, vcc_lo, s1, v58, vcc_lo
	global_load_b128 v[57:60], v[57:58], off
.LBB0_44:
	s_or_b32 exec_lo, exec_lo, s11
	v_mov_b32_e32 v67, 0
	v_mov_b32_e32 v68, 0
	s_delay_alu instid0(VALU_DEP_1)
	v_dual_mov_b32 v65, v67 :: v_dual_mov_b32 v66, v68
	s_and_saveexec_b32 s11, s7
	s_cbranch_execz .LBB0_46
; %bb.45:
	v_add_nc_u32_e32 v0, 0x110, v190
	v_mov_b32_e32 v66, 0
	s_delay_alu instid0(VALU_DEP_2) | instskip(NEXT) | instid1(VALU_DEP_1)
	v_mul_lo_u32 v0, s12, v0
	v_add3_u32 v65, s10, v71, v0
	s_delay_alu instid0(VALU_DEP_1) | instskip(NEXT) | instid1(VALU_DEP_1)
	v_lshlrev_b64 v[65:66], 4, v[65:66]
	v_add_co_u32 v65, vcc_lo, s0, v65
	s_delay_alu instid0(VALU_DEP_2)
	v_add_co_ci_u32_e32 v66, vcc_lo, s1, v66, vcc_lo
	global_load_b128 v[65:68], v[65:66], off
.LBB0_46:
	s_or_b32 exec_lo, exec_lo, s11
	s_waitcnt vmcnt(0)
	v_add_f64 v[70:71], v[1:2], v[5:6]
	v_add_f64 v[72:73], v[3:4], v[7:8]
	;; [unrolled: 1-line block ×3, first 2 shown]
	v_add_f64 v[130:131], v[37:38], -v[33:34]
	v_add_f64 v[136:137], v[29:30], v[45:46]
	v_add_f64 v[134:135], v[29:30], -v[45:46]
	v_add_f64 v[140:141], v[25:26], v[41:42]
	;; [unrolled: 2-line block ×6, first 2 shown]
	v_add_f64 v[180:181], v[9:10], -v[57:58]
	s_mov_b32 s0, 0x370991
	s_mov_b32 s16, 0x75d4884
	;; [unrolled: 1-line block ×22, first 2 shown]
	v_add_f64 v[70:71], v[70:71], v[9:10]
	v_add_f64 v[72:73], v[72:73], v[11:12]
	s_mov_b32 s56, 0x4363dd80
	s_mov_b32 s44, 0xacd6c6b4
	;; [unrolled: 1-line block ×26, first 2 shown]
	v_mul_f64 v[110:111], v[154:155], s[34:35]
	v_mul_f64 v[112:113], v[150:151], s[50:51]
	;; [unrolled: 1-line block ×10, first 2 shown]
	v_add_f64 v[70:71], v[70:71], v[13:14]
	v_add_f64 v[72:73], v[72:73], v[15:16]
	v_mul_f64 v[146:147], v[182:183], s[36:37]
	v_mul_f64 v[156:157], v[174:175], s[44:45]
	;; [unrolled: 1-line block ×31, first 2 shown]
	s_load_b64 s[62:63], s[62:63], 0x0
	v_add_f64 v[70:71], v[70:71], v[17:18]
	v_add_f64 v[72:73], v[72:73], v[19:20]
	s_delay_alu instid0(VALU_DEP_2) | instskip(NEXT) | instid1(VALU_DEP_2)
	v_add_f64 v[70:71], v[70:71], v[21:22]
	v_add_f64 v[72:73], v[72:73], v[23:24]
	s_delay_alu instid0(VALU_DEP_2) | instskip(NEXT) | instid1(VALU_DEP_2)
	;; [unrolled: 3-line block ×3, first 2 shown]
	v_add_f64 v[70:71], v[70:71], v[29:30]
	v_add_f64 v[74:75], v[72:73], v[31:32]
	v_add_f64 v[29:30], v[31:32], -v[47:48]
	s_delay_alu instid0(VALU_DEP_3) | instskip(NEXT) | instid1(VALU_DEP_3)
	v_add_f64 v[72:73], v[70:71], v[37:38]
	v_add_f64 v[74:75], v[74:75], v[39:40]
	;; [unrolled: 1-line block ×3, first 2 shown]
	v_add_f64 v[37:38], v[39:40], -v[35:36]
	s_delay_alu instid0(VALU_DEP_4) | instskip(NEXT) | instid1(VALU_DEP_4)
	v_add_f64 v[39:40], v[72:73], v[33:34]
	v_add_f64 v[35:36], v[74:75], v[35:36]
	v_add_f64 v[33:34], v[31:32], v[47:48]
	v_add_f64 v[31:32], v[27:28], v[43:44]
	s_delay_alu instid0(VALU_DEP_4) | instskip(NEXT) | instid1(VALU_DEP_4)
	v_add_f64 v[39:40], v[39:40], v[45:46]
	v_add_f64 v[45:46], v[35:36], v[47:48]
	v_add_f64 v[35:36], v[27:28], -v[43:44]
	v_add_f64 v[47:48], v[15:16], v[63:64]
	s_delay_alu instid0(VALU_DEP_4) | instskip(NEXT) | instid1(VALU_DEP_4)
	v_add_f64 v[25:26], v[39:40], v[41:42]
	v_add_f64 v[27:28], v[45:46], v[43:44]
	v_add_f64 v[39:40], v[23:24], v[55:56]
	v_add_f64 v[41:42], v[23:24], -v[55:56]
	v_add_f64 v[43:44], v[19:20], v[51:52]
	v_add_f64 v[45:46], v[19:20], -v[51:52]
	v_add_f64 v[21:22], v[25:26], v[53:54]
	v_add_f64 v[23:24], v[27:28], v[55:56]
	v_add_f64 v[53:54], v[11:12], -v[59:60]
	s_delay_alu instid0(VALU_DEP_3) | instskip(NEXT) | instid1(VALU_DEP_3)
	v_add_f64 v[17:18], v[21:22], v[49:50]
	v_add_f64 v[19:20], v[23:24], v[51:52]
	v_add_f64 v[49:50], v[15:16], -v[63:64]
	v_add_f64 v[51:52], v[11:12], v[59:60]
	s_delay_alu instid0(VALU_DEP_4) | instskip(NEXT) | instid1(VALU_DEP_4)
	v_add_f64 v[13:14], v[17:18], v[61:62]
	v_add_f64 v[15:16], v[19:20], v[63:64]
	v_add_f64 v[17:18], v[5:6], -v[65:66]
	v_add_f64 v[19:20], v[7:8], -v[67:68]
	s_delay_alu instid0(VALU_DEP_4) | instskip(NEXT) | instid1(VALU_DEP_4)
	v_add_f64 v[9:10], v[13:14], v[57:58]
	v_add_f64 v[11:12], v[15:16], v[59:60]
	;; [unrolled: 1-line block ×4, first 2 shown]
	v_mul_f64 v[63:64], v[17:18], s[38:39]
	v_mul_f64 v[80:81], v[17:18], s[26:27]
	;; [unrolled: 1-line block ×5, first 2 shown]
	v_add_f64 v[186:187], v[9:10], v[65:66]
	v_add_f64 v[188:189], v[11:12], v[67:68]
	v_mul_f64 v[9:10], v[13:14], s[0:1]
	v_mul_f64 v[11:12], v[13:14], s[16:17]
	;; [unrolled: 1-line block ×8, first 2 shown]
	v_fma_f64 v[98:99], v[15:16], s[30:31], -v[63:64]
	v_fma_f64 v[100:101], v[15:16], s[14:15], v[80:81]
	v_fma_f64 v[80:81], v[15:16], s[14:15], -v[80:81]
	v_fma_f64 v[94:95], v[15:16], s[30:31], v[63:64]
	v_fma_f64 v[102:103], v[15:16], s[24:25], v[82:83]
	v_fma_f64 v[82:83], v[15:16], s[24:25], -v[82:83]
	v_fma_f64 v[104:105], v[15:16], s[36:37], v[84:85]
	v_fma_f64 v[84:85], v[15:16], s[36:37], -v[84:85]
	;; [unrolled: 2-line block ×3, first 2 shown]
	v_fma_f64 v[57:58], v[19:20], s[46:47], v[9:10]
	v_fma_f64 v[9:10], v[19:20], s[10:11], v[9:10]
	;; [unrolled: 1-line block ×16, first 2 shown]
	v_mul_f64 v[19:20], v[17:18], s[10:11]
	v_mul_f64 v[55:56], v[17:18], s[58:59]
	;; [unrolled: 1-line block ×3, first 2 shown]
	v_add_f64 v[152:153], v[3:4], v[94:95]
	v_add_f64 v[191:192], v[3:4], v[100:101]
	;; [unrolled: 1-line block ×7, first 2 shown]
	v_mul_f64 v[84:85], v[138:139], s[42:43]
	v_mul_f64 v[86:87], v[136:137], s[12:13]
	;; [unrolled: 1-line block ×5, first 2 shown]
	v_add_f64 v[5:6], v[1:2], v[9:10]
	v_add_f64 v[9:10], v[1:2], v[59:60]
	;; [unrolled: 1-line block ×7, first 2 shown]
	v_fma_f64 v[27:28], v[49:50], s[58:59], v[251:252]
	v_fma_f64 v[88:89], v[15:16], s[0:1], v[19:20]
	v_fma_f64 v[19:20], v[15:16], s[0:1], -v[19:20]
	v_fma_f64 v[92:93], v[15:16], s[16:17], -v[55:56]
	v_fma_f64 v[90:91], v[15:16], s[16:17], v[55:56]
	v_fma_f64 v[108:109], v[15:16], s[34:35], v[17:18]
	v_fma_f64 v[15:16], v[15:16], s[34:35], -v[17:18]
	v_add_f64 v[17:18], v[1:2], v[57:58]
	scratch_store_b64 off, v[5:6], off offset:4 ; 8-byte Folded Spill
	v_add_f64 v[88:89], v[3:4], v[88:89]
	v_add_f64 v[5:6], v[3:4], v[19:20]
	;; [unrolled: 1-line block ×4, first 2 shown]
	v_mul_f64 v[90:91], v[132:133], s[34:35]
	v_mul_f64 v[108:109], v[174:175], s[42:43]
	scratch_store_b64 off, v[5:6], off offset:20 ; 8-byte Folded Spill
	v_add_f64 v[5:6], v[1:2], v[11:12]
	scratch_store_b64 off, v[5:6], off offset:52 ; 8-byte Folded Spill
	v_add_f64 v[5:6], v[3:4], v[92:93]
	v_mul_f64 v[92:93], v[130:131], s[50:51]
	scratch_store_b64 off, v[5:6], off offset:36 ; 8-byte Folded Spill
	v_add_f64 v[5:6], v[1:2], v[21:22]
	v_add_f64 v[21:22], v[1:2], v[65:66]
	scratch_store_b64 off, v[5:6], off offset:164 ; 8-byte Folded Spill
	v_add_f64 v[5:6], v[3:4], v[98:99]
	scratch_store_b64 off, v[5:6], off offset:156 ; 8-byte Folded Spill
	v_add_f64 v[5:6], v[1:2], v[23:24]
	v_add_f64 v[23:24], v[1:2], v[67:68]
	scratch_store_b64 off, v[5:6], off offset:180 ; 8-byte Folded Spill
	v_add_f64 v[5:6], v[3:4], v[80:81]
	scratch_store_b64 off, v[5:6], off offset:172 ; 8-byte Folded Spill
	v_add_f64 v[5:6], v[1:2], v[25:26]
	v_add_f64 v[25:26], v[1:2], v[72:73]
	;; [unrolled: 1-line block ×3, first 2 shown]
	v_fma_f64 v[13:14], v[49:50], s[48:49], v[106:107]
	scratch_store_b64 off, v[5:6], off offset:196 ; 8-byte Folded Spill
	v_add_f64 v[5:6], v[3:4], v[82:83]
	scratch_store_b64 off, v[0:1], off offset:212 ; 8-byte Folded Spill
	v_add_f64 v[0:1], v[3:4], v[15:16]
	v_mul_f64 v[3:4], v[180:181], s[58:59]
	scratch_store_b64 off, v[5:6], off offset:188 ; 8-byte Folded Spill
	v_mul_f64 v[5:6], v[176:177], s[30:31]
	scratch_store_b64 off, v[0:1], off offset:204 ; 8-byte Folded Spill
	;; [unrolled: 2-line block ×3, first 2 shown]
	v_fma_f64 v[3:4], v[51:52], s[16:17], v[3:4]
	scratch_store_b64 off, v[5:6], off offset:84 ; 8-byte Folded Spill
	v_fma_f64 v[11:12], v[49:50], s[60:61], v[5:6]
	scratch_store_b64 off, v[0:1], off offset:68 ; 8-byte Folded Spill
	v_fma_f64 v[1:2], v[53:54], s[18:19], v[0:1]
	v_mul_f64 v[5:6], v[174:175], s[38:39]
	v_add_f64 v[3:4], v[3:4], v[88:89]
	v_mul_f64 v[88:89], v[134:135], s[28:29]
	s_delay_alu instid0(VALU_DEP_4) | instskip(SKIP_4) | instid1(VALU_DEP_2)
	v_add_f64 v[1:2], v[1:2], v[17:18]
	scratch_store_b64 off, v[5:6], off offset:100 ; 8-byte Folded Spill
	v_add_f64 v[1:2], v[11:12], v[1:2]
	v_fma_f64 v[11:12], v[47:48], s[30:31], v[5:6]
	v_mul_f64 v[5:6], v[154:155], s[14:15]
	v_add_f64 v[3:4], v[11:12], v[3:4]
	scratch_store_b64 off, v[5:6], off offset:116 ; 8-byte Folded Spill
	v_fma_f64 v[11:12], v[45:46], s[52:53], v[5:6]
	v_mul_f64 v[5:6], v[150:151], s[26:27]
	s_delay_alu instid0(VALU_DEP_2) | instskip(SKIP_3) | instid1(VALU_DEP_2)
	v_add_f64 v[1:2], v[11:12], v[1:2]
	scratch_store_b64 off, v[5:6], off offset:124 ; 8-byte Folded Spill
	v_fma_f64 v[11:12], v[43:44], s[14:15], v[5:6]
	v_mul_f64 v[5:6], v[144:145], s[24:25]
	v_add_f64 v[3:4], v[11:12], v[3:4]
	scratch_store_b64 off, v[5:6], off offset:132 ; 8-byte Folded Spill
	v_fma_f64 v[11:12], v[41:42], s[40:41], v[5:6]
	v_mul_f64 v[5:6], v[142:143], s[54:55]
	s_delay_alu instid0(VALU_DEP_2) | instskip(SKIP_3) | instid1(VALU_DEP_2)
	v_add_f64 v[1:2], v[11:12], v[1:2]
	scratch_store_b64 off, v[5:6], off offset:140 ; 8-byte Folded Spill
	v_fma_f64 v[11:12], v[39:40], s[24:25], v[5:6]
	v_mul_f64 v[5:6], v[140:141], s[36:37]
	v_add_f64 v[3:4], v[11:12], v[3:4]
	s_delay_alu instid0(VALU_DEP_2) | instskip(SKIP_4) | instid1(VALU_DEP_1)
	v_fma_f64 v[11:12], v[35:36], s[48:49], v[5:6]
	scratch_store_b64 off, v[5:6], off offset:148 ; 8-byte Folded Spill
	v_mul_f64 v[6:7], v[142:143], s[50:51]
	v_add_f64 v[1:2], v[11:12], v[1:2]
	v_fma_f64 v[11:12], v[31:32], s[36:37], v[84:85]
	v_add_f64 v[3:4], v[11:12], v[3:4]
	v_fma_f64 v[11:12], v[29:30], s[56:57], v[86:87]
	s_delay_alu instid0(VALU_DEP_1) | instskip(SKIP_1) | instid1(VALU_DEP_1)
	v_add_f64 v[1:2], v[11:12], v[1:2]
	v_fma_f64 v[11:12], v[33:34], s[12:13], v[88:89]
	v_add_f64 v[3:4], v[11:12], v[3:4]
	v_fma_f64 v[11:12], v[37:38], s[44:45], v[90:91]
	s_delay_alu instid0(VALU_DEP_1) | instskip(SKIP_2) | instid1(VALU_DEP_2)
	v_add_f64 v[72:73], v[11:12], v[1:2]
	v_fma_f64 v[11:12], v[70:71], s[34:35], v[92:93]
	v_mul_f64 v[0:1], v[150:151], s[38:39]
	v_add_f64 v[74:75], v[11:12], v[3:4]
	v_fma_f64 v[11:12], v[53:54], s[52:53], v[102:103]
	s_delay_alu instid0(VALU_DEP_3) | instskip(SKIP_2) | instid1(VALU_DEP_4)
	v_fma_f64 v[2:3], v[43:44], s[30:31], v[0:1]
	v_mul_f64 v[4:5], v[144:145], s[34:35]
	v_fma_f64 v[0:1], v[43:44], s[30:31], -v[0:1]
	v_add_f64 v[9:10], v[11:12], v[9:10]
	v_fma_f64 v[11:12], v[51:52], s[14:15], v[104:105]
	s_delay_alu instid0(VALU_DEP_2) | instskip(NEXT) | instid1(VALU_DEP_2)
	v_add_f64 v[9:10], v[13:14], v[9:10]
	v_add_f64 v[11:12], v[11:12], v[19:20]
	v_fma_f64 v[13:14], v[47:48], s[36:37], v[108:109]
	v_fma_f64 v[19:20], v[51:52], s[34:35], v[219:220]
	s_delay_alu instid0(VALU_DEP_2) | instskip(SKIP_1) | instid1(VALU_DEP_3)
	v_add_f64 v[11:12], v[13:14], v[11:12]
	v_fma_f64 v[13:14], v[45:46], s[44:45], v[110:111]
	v_add_f64 v[19:20], v[19:20], v[191:192]
	v_mul_f64 v[191:192], v[180:181], s[40:41]
	s_delay_alu instid0(VALU_DEP_3) | instskip(SKIP_1) | instid1(VALU_DEP_1)
	v_add_f64 v[9:10], v[13:14], v[9:10]
	v_fma_f64 v[13:14], v[43:44], s[34:35], v[112:113]
	v_add_f64 v[11:12], v[13:14], v[11:12]
	v_fma_f64 v[13:14], v[41:42], s[28:29], v[114:115]
	s_delay_alu instid0(VALU_DEP_1) | instskip(SKIP_1) | instid1(VALU_DEP_1)
	v_add_f64 v[9:10], v[13:14], v[9:10]
	v_fma_f64 v[13:14], v[39:40], s[12:13], v[116:117]
	v_add_f64 v[11:12], v[13:14], v[11:12]
	v_fma_f64 v[13:14], v[35:36], s[54:55], v[118:119]
	s_delay_alu instid0(VALU_DEP_1) | instskip(SKIP_1) | instid1(VALU_DEP_1)
	;; [unrolled: 5-line block ×3, first 2 shown]
	v_add_f64 v[9:10], v[13:14], v[9:10]
	v_fma_f64 v[13:14], v[33:34], s[30:31], v[124:125]
	v_add_f64 v[11:12], v[13:14], v[11:12]
	v_fma_f64 v[13:14], v[37:38], s[10:11], v[126:127]
	s_delay_alu instid0(VALU_DEP_1) | instskip(SKIP_2) | instid1(VALU_DEP_2)
	v_add_f64 v[63:64], v[13:14], v[9:10]
	v_fma_f64 v[13:14], v[70:71], s[0:1], v[128:129]
	v_mul_f64 v[8:9], v[140:141], s[14:15]
	v_add_f64 v[65:66], v[13:14], v[11:12]
	v_fma_f64 v[13:14], v[53:54], s[48:49], v[146:147]
	s_delay_alu instid0(VALU_DEP_3) | instskip(NEXT) | instid1(VALU_DEP_2)
	v_fma_f64 v[10:11], v[35:36], s[26:27], v[8:9]
	v_add_f64 v[13:14], v[13:14], v[148:149]
	v_mul_f64 v[148:149], v[180:181], s[42:43]
	s_delay_alu instid0(VALU_DEP_1) | instskip(NEXT) | instid1(VALU_DEP_1)
	v_fma_f64 v[15:16], v[51:52], s[36:37], v[148:149]
	v_add_f64 v[15:16], v[15:16], v[152:153]
	v_mul_f64 v[152:153], v[176:177], s[34:35]
	s_delay_alu instid0(VALU_DEP_1) | instskip(NEXT) | instid1(VALU_DEP_1)
	v_fma_f64 v[17:18], v[49:50], s[50:51], v[152:153]
	v_add_f64 v[13:14], v[17:18], v[13:14]
	v_fma_f64 v[17:18], v[47:48], s[34:35], v[156:157]
	s_delay_alu instid0(VALU_DEP_1) | instskip(SKIP_1) | instid1(VALU_DEP_1)
	v_add_f64 v[15:16], v[17:18], v[15:16]
	v_fma_f64 v[17:18], v[45:46], s[54:55], v[158:159]
	v_add_f64 v[13:14], v[17:18], v[13:14]
	v_fma_f64 v[17:18], v[43:44], s[24:25], v[160:161]
	s_delay_alu instid0(VALU_DEP_1) | instskip(SKIP_1) | instid1(VALU_DEP_1)
	v_add_f64 v[15:16], v[17:18], v[15:16]
	;; [unrolled: 5-line block ×5, first 2 shown]
	v_fma_f64 v[17:18], v[37:38], s[56:57], v[178:179]
	v_add_f64 v[59:60], v[17:18], v[13:14]
	v_fma_f64 v[17:18], v[70:71], s[12:13], v[184:185]
	v_mul_f64 v[12:13], v[138:139], s[52:53]
	s_delay_alu instid0(VALU_DEP_2) | instskip(SKIP_1) | instid1(VALU_DEP_3)
	v_add_f64 v[61:62], v[17:18], v[15:16]
	v_fma_f64 v[17:18], v[53:54], s[44:45], v[217:218]
	v_fma_f64 v[14:15], v[31:32], s[14:15], v[12:13]
	s_delay_alu instid0(VALU_DEP_2) | instskip(SKIP_1) | instid1(VALU_DEP_1)
	v_add_f64 v[17:18], v[17:18], v[21:22]
	v_fma_f64 v[21:22], v[49:50], s[54:55], v[221:222]
	v_add_f64 v[17:18], v[21:22], v[17:18]
	v_fma_f64 v[21:22], v[47:48], s[24:25], v[223:224]
	s_delay_alu instid0(VALU_DEP_1) | instskip(SKIP_1) | instid1(VALU_DEP_1)
	v_add_f64 v[19:20], v[21:22], v[19:20]
	v_fma_f64 v[21:22], v[45:46], s[10:11], v[225:226]
	v_add_f64 v[17:18], v[21:22], v[17:18]
	v_fma_f64 v[21:22], v[43:44], s[0:1], v[227:228]
	s_delay_alu instid0(VALU_DEP_1) | instskip(SKIP_1) | instid1(VALU_DEP_1)
	;; [unrolled: 5-line block ×5, first 2 shown]
	v_add_f64 v[19:20], v[21:22], v[19:20]
	v_fma_f64 v[21:22], v[37:38], s[58:59], v[243:244]
	v_add_f64 v[55:56], v[21:22], v[17:18]
	v_fma_f64 v[21:22], v[70:71], s[16:17], v[245:246]
	v_mul_f64 v[16:17], v[134:135], s[10:11]
	s_delay_alu instid0(VALU_DEP_2) | instskip(SKIP_1) | instid1(VALU_DEP_3)
	v_add_f64 v[57:58], v[21:22], v[19:20]
	v_fma_f64 v[21:22], v[53:54], s[28:29], v[247:248]
	v_fma_f64 v[18:19], v[33:34], s[0:1], v[16:17]
	s_delay_alu instid0(VALU_DEP_2) | instskip(SKIP_1) | instid1(VALU_DEP_2)
	v_add_f64 v[21:22], v[21:22], v[23:24]
	v_fma_f64 v[23:24], v[51:52], s[12:13], v[249:250]
	v_add_f64 v[21:22], v[27:28], v[21:22]
	s_delay_alu instid0(VALU_DEP_2) | instskip(SKIP_2) | instid1(VALU_DEP_2)
	v_add_f64 v[23:24], v[23:24], v[193:194]
	v_fma_f64 v[27:28], v[47:48], s[16:17], v[253:254]
	v_mul_f64 v[193:194], v[176:177], s[0:1]
	v_add_f64 v[23:24], v[27:28], v[23:24]
	v_fma_f64 v[27:28], v[45:46], s[60:61], v[233:234]
	s_delay_alu instid0(VALU_DEP_2) | instskip(NEXT) | instid1(VALU_DEP_2)
	v_add_f64 v[2:3], v[2:3], v[23:24]
	v_add_f64 v[21:22], v[27:28], v[21:22]
	v_fma_f64 v[23:24], v[41:42], s[44:45], v[4:5]
	v_fma_f64 v[4:5], v[41:42], s[50:51], v[4:5]
	s_delay_alu instid0(VALU_DEP_2) | instskip(SKIP_1) | instid1(VALU_DEP_2)
	v_add_f64 v[21:22], v[23:24], v[21:22]
	v_fma_f64 v[23:24], v[39:40], s[34:35], v[6:7]
	v_add_f64 v[10:11], v[10:11], v[21:22]
	s_delay_alu instid0(VALU_DEP_2) | instskip(NEXT) | instid1(VALU_DEP_1)
	v_add_f64 v[2:3], v[23:24], v[2:3]
	v_add_f64 v[2:3], v[14:15], v[2:3]
	v_mul_f64 v[14:15], v[136:137], s[0:1]
	s_delay_alu instid0(VALU_DEP_2) | instskip(NEXT) | instid1(VALU_DEP_2)
	v_add_f64 v[2:3], v[18:19], v[2:3]
	v_fma_f64 v[21:22], v[29:30], s[46:47], v[14:15]
	v_mul_f64 v[18:19], v[132:133], s[36:37]
	s_delay_alu instid0(VALU_DEP_2) | instskip(NEXT) | instid1(VALU_DEP_2)
	v_add_f64 v[10:11], v[21:22], v[10:11]
	v_fma_f64 v[20:21], v[37:38], s[48:49], v[18:19]
	s_delay_alu instid0(VALU_DEP_1) | instskip(SKIP_1) | instid1(VALU_DEP_1)
	v_add_f64 v[21:22], v[20:21], v[10:11]
	v_mul_f64 v[10:11], v[130:131], s[42:43]
	v_fma_f64 v[23:24], v[70:71], s[36:37], v[10:11]
	s_delay_alu instid0(VALU_DEP_1) | instskip(SKIP_1) | instid1(VALU_DEP_1)
	v_add_f64 v[23:24], v[23:24], v[2:3]
	v_mul_f64 v[2:3], v[182:183], s[24:25]
	v_fma_f64 v[27:28], v[53:54], s[54:55], v[2:3]
	v_fma_f64 v[2:3], v[53:54], s[40:41], v[2:3]
	s_delay_alu instid0(VALU_DEP_2) | instskip(SKIP_1) | instid1(VALU_DEP_3)
	v_add_f64 v[25:26], v[27:28], v[25:26]
	v_fma_f64 v[27:28], v[51:52], s[24:25], v[191:192]
	v_add_f64 v[2:3], v[2:3], v[197:198]
	s_delay_alu instid0(VALU_DEP_2) | instskip(SKIP_1) | instid1(VALU_DEP_1)
	v_add_f64 v[27:28], v[27:28], v[195:196]
	v_fma_f64 v[195:196], v[49:50], s[46:47], v[193:194]
	v_add_f64 v[25:26], v[195:196], v[25:26]
	v_mul_f64 v[195:196], v[174:175], s[10:11]
	s_delay_alu instid0(VALU_DEP_1) | instskip(NEXT) | instid1(VALU_DEP_1)
	v_fma_f64 v[100:101], v[47:48], s[0:1], v[195:196]
	v_add_f64 v[27:28], v[100:101], v[27:28]
	v_mul_f64 v[100:101], v[154:155], s[12:13]
	s_delay_alu instid0(VALU_DEP_1) | instskip(SKIP_1) | instid1(VALU_DEP_2)
	v_fma_f64 v[98:99], v[45:46], s[56:57], v[100:101]
	v_fma_f64 v[100:101], v[45:46], s[28:29], v[100:101]
	v_add_f64 v[25:26], v[98:99], v[25:26]
	v_mul_f64 v[98:99], v[150:151], s[28:29]
	s_delay_alu instid0(VALU_DEP_1) | instskip(SKIP_1) | instid1(VALU_DEP_2)
	v_fma_f64 v[96:97], v[43:44], s[12:13], v[98:99]
	v_fma_f64 v[98:99], v[43:44], s[12:13], -v[98:99]
	v_add_f64 v[27:28], v[96:97], v[27:28]
	v_mul_f64 v[96:97], v[144:145], s[14:15]
	s_delay_alu instid0(VALU_DEP_1) | instskip(SKIP_1) | instid1(VALU_DEP_2)
	v_fma_f64 v[94:95], v[41:42], s[26:27], v[96:97]
	v_fma_f64 v[96:97], v[41:42], s[52:53], v[96:97]
	v_add_f64 v[25:26], v[94:95], v[25:26]
	v_mul_f64 v[94:95], v[142:143], s[52:53]
	s_delay_alu instid0(VALU_DEP_1) | instskip(SKIP_1) | instid1(VALU_DEP_2)
	v_fma_f64 v[67:68], v[39:40], s[14:15], v[94:95]
	v_fma_f64 v[94:95], v[39:40], s[14:15], -v[94:95]
	v_add_f64 v[27:28], v[67:68], v[27:28]
	v_mul_f64 v[67:68], v[140:141], s[16:17]
	s_delay_alu instid0(VALU_DEP_1) | instskip(SKIP_1) | instid1(VALU_DEP_2)
	v_fma_f64 v[215:216], v[35:36], s[18:19], v[67:68]
	v_fma_f64 v[67:68], v[35:36], s[58:59], v[67:68]
	v_add_f64 v[25:26], v[215:216], v[25:26]
	v_mul_f64 v[215:216], v[138:139], s[58:59]
	s_delay_alu instid0(VALU_DEP_1) | instskip(NEXT) | instid1(VALU_DEP_1)
	v_fma_f64 v[213:214], v[31:32], s[16:17], v[215:216]
	v_add_f64 v[27:28], v[213:214], v[27:28]
	v_mul_f64 v[213:214], v[136:137], s[34:35]
	s_delay_alu instid0(VALU_DEP_1) | instskip(NEXT) | instid1(VALU_DEP_1)
	v_fma_f64 v[76:77], v[29:30], s[44:45], v[213:214]
	v_add_f64 v[25:26], v[76:77], v[25:26]
	v_mul_f64 v[76:77], v[134:135], s[50:51]
	s_delay_alu instid0(VALU_DEP_1) | instskip(SKIP_1) | instid1(VALU_DEP_2)
	v_fma_f64 v[78:79], v[33:34], s[34:35], v[76:77]
	v_fma_f64 v[76:77], v[33:34], s[34:35], -v[76:77]
	v_add_f64 v[27:28], v[78:79], v[27:28]
	v_mul_f64 v[78:79], v[132:133], s[30:31]
	s_delay_alu instid0(VALU_DEP_1) | instskip(NEXT) | instid1(VALU_DEP_1)
	v_fma_f64 v[80:81], v[37:38], s[38:39], v[78:79]
	v_add_f64 v[25:26], v[80:81], v[25:26]
	v_mul_f64 v[80:81], v[130:131], s[60:61]
	s_delay_alu instid0(VALU_DEP_1) | instskip(NEXT) | instid1(VALU_DEP_1)
	v_fma_f64 v[82:83], v[70:71], s[30:31], v[80:81]
	v_add_f64 v[27:28], v[82:83], v[27:28]
	v_fma_f64 v[82:83], v[51:52], s[24:25], -v[191:192]
	v_fma_f64 v[191:192], v[49:50], s[10:11], v[193:194]
	s_delay_alu instid0(VALU_DEP_2) | instskip(NEXT) | instid1(VALU_DEP_2)
	v_add_f64 v[82:83], v[82:83], v[199:200]
	v_add_f64 v[2:3], v[191:192], v[2:3]
	v_fma_f64 v[191:192], v[47:48], s[0:1], -v[195:196]
	v_mul_f64 v[199:200], v[140:141], s[34:35]
	v_mul_f64 v[140:141], v[140:141], s[30:31]
	s_delay_alu instid0(VALU_DEP_4) | instskip(NEXT) | instid1(VALU_DEP_4)
	v_add_f64 v[2:3], v[100:101], v[2:3]
	v_add_f64 v[82:83], v[191:192], v[82:83]
	s_delay_alu instid0(VALU_DEP_2) | instskip(NEXT) | instid1(VALU_DEP_2)
	v_add_f64 v[2:3], v[96:97], v[2:3]
	v_add_f64 v[82:83], v[98:99], v[82:83]
	s_delay_alu instid0(VALU_DEP_2) | instskip(NEXT) | instid1(VALU_DEP_2)
	v_add_f64 v[2:3], v[67:68], v[2:3]
	v_add_f64 v[82:83], v[94:95], v[82:83]
	v_fma_f64 v[67:68], v[31:32], s[16:17], -v[215:216]
	v_mul_f64 v[215:216], v[132:133], s[24:25]
	s_delay_alu instid0(VALU_DEP_2) | instskip(SKIP_3) | instid1(VALU_DEP_4)
	v_add_f64 v[67:68], v[67:68], v[82:83]
	v_fma_f64 v[82:83], v[29:30], s[50:51], v[213:214]
	v_mul_f64 v[213:214], v[134:135], s[18:19]
	v_mul_f64 v[134:135], v[134:135], s[54:55]
	v_add_f64 v[67:68], v[76:77], v[67:68]
	s_delay_alu instid0(VALU_DEP_4) | instskip(SKIP_3) | instid1(VALU_DEP_3)
	v_add_f64 v[2:3], v[82:83], v[2:3]
	v_fma_f64 v[76:77], v[37:38], s[60:61], v[78:79]
	v_fma_f64 v[78:79], v[70:71], s[30:31], -v[80:81]
	v_mul_f64 v[80:81], v[176:177], s[14:15]
	v_add_f64 v[191:192], v[76:77], v[2:3]
	v_mul_f64 v[2:3], v[182:183], s[30:31]
	s_delay_alu instid0(VALU_DEP_4) | instskip(SKIP_2) | instid1(VALU_DEP_4)
	v_add_f64 v[193:194], v[78:79], v[67:68]
	v_mul_f64 v[76:77], v[180:181], s[60:61]
	v_fma_f64 v[82:83], v[49:50], s[52:53], v[80:81]
	v_fma_f64 v[67:68], v[53:54], s[38:39], v[2:3]
	;; [unrolled: 1-line block ×3, first 2 shown]
	s_delay_alu instid0(VALU_DEP_4) | instskip(SKIP_1) | instid1(VALU_DEP_4)
	v_fma_f64 v[78:79], v[51:52], s[30:31], v[76:77]
	v_fma_f64 v[76:77], v[51:52], s[30:31], -v[76:77]
	v_add_f64 v[67:68], v[67:68], v[201:202]
	v_mul_f64 v[201:202], v[138:139], s[50:51]
	s_delay_alu instid0(VALU_DEP_4)
	v_add_f64 v[78:79], v[78:79], v[203:204]
	v_mul_f64 v[203:204], v[136:137], s[16:17]
	v_add_f64 v[2:3], v[2:3], v[205:206]
	v_add_f64 v[76:77], v[76:77], v[207:208]
	v_mul_f64 v[138:139], v[138:139], s[60:61]
	v_mul_f64 v[136:137], v[136:137], s[24:25]
	v_add_f64 v[67:68], v[82:83], v[67:68]
	v_mul_f64 v[82:83], v[174:175], s[26:27]
	s_delay_alu instid0(VALU_DEP_1) | instskip(NEXT) | instid1(VALU_DEP_1)
	v_fma_f64 v[94:95], v[47:48], s[14:15], v[82:83]
	v_add_f64 v[78:79], v[94:95], v[78:79]
	v_mul_f64 v[94:95], v[154:155], s[36:37]
	s_delay_alu instid0(VALU_DEP_1) | instskip(NEXT) | instid1(VALU_DEP_1)
	v_fma_f64 v[96:97], v[45:46], s[42:43], v[94:95]
	;; [unrolled: 4-line block ×5, first 2 shown]
	v_add_f64 v[78:79], v[195:196], v[78:79]
	v_fma_f64 v[195:196], v[35:36], s[44:45], v[199:200]
	s_delay_alu instid0(VALU_DEP_1) | instskip(SKIP_1) | instid1(VALU_DEP_1)
	v_add_f64 v[67:68], v[195:196], v[67:68]
	v_fma_f64 v[195:196], v[31:32], s[34:35], v[201:202]
	v_add_f64 v[78:79], v[195:196], v[78:79]
	v_fma_f64 v[195:196], v[29:30], s[58:59], v[203:204]
	s_delay_alu instid0(VALU_DEP_1) | instskip(SKIP_1) | instid1(VALU_DEP_1)
	v_add_f64 v[67:68], v[195:196], v[67:68]
	v_fma_f64 v[195:196], v[33:34], s[16:17], v[213:214]
	v_add_f64 v[78:79], v[195:196], v[78:79]
	v_fma_f64 v[195:196], v[37:38], s[40:41], v[215:216]
	s_delay_alu instid0(VALU_DEP_1) | instskip(SKIP_1) | instid1(VALU_DEP_1)
	v_add_f64 v[195:196], v[195:196], v[67:68]
	v_mul_f64 v[67:68], v[130:131], s[54:55]
	v_fma_f64 v[197:198], v[70:71], s[24:25], v[67:68]
	v_fma_f64 v[67:68], v[70:71], s[24:25], -v[67:68]
	s_delay_alu instid0(VALU_DEP_2) | instskip(SKIP_2) | instid1(VALU_DEP_2)
	v_add_f64 v[197:198], v[197:198], v[78:79]
	v_fma_f64 v[78:79], v[49:50], s[26:27], v[80:81]
	v_mul_f64 v[80:81], v[176:177], s[12:13]
	v_add_f64 v[2:3], v[78:79], v[2:3]
	v_fma_f64 v[78:79], v[47:48], s[14:15], -v[82:83]
	s_delay_alu instid0(VALU_DEP_3) | instskip(NEXT) | instid1(VALU_DEP_2)
	v_fma_f64 v[82:83], v[49:50], s[56:57], v[80:81]
	v_add_f64 v[76:77], v[78:79], v[76:77]
	v_fma_f64 v[78:79], v[45:46], s[48:49], v[94:95]
	s_delay_alu instid0(VALU_DEP_1) | instskip(SKIP_1) | instid1(VALU_DEP_1)
	v_add_f64 v[2:3], v[78:79], v[2:3]
	v_fma_f64 v[78:79], v[43:44], s[36:37], -v[96:97]
	v_add_f64 v[76:77], v[78:79], v[76:77]
	v_fma_f64 v[78:79], v[41:42], s[10:11], v[98:99]
	s_delay_alu instid0(VALU_DEP_1) | instskip(SKIP_1) | instid1(VALU_DEP_1)
	v_add_f64 v[2:3], v[78:79], v[2:3]
	v_fma_f64 v[78:79], v[39:40], s[0:1], -v[100:101]
	;; [unrolled: 5-line block ×4, first 2 shown]
	v_add_f64 v[76:77], v[78:79], v[76:77]
	v_fma_f64 v[78:79], v[37:38], s[54:55], v[215:216]
	s_delay_alu instid0(VALU_DEP_2) | instskip(NEXT) | instid1(VALU_DEP_2)
	v_add_f64 v[201:202], v[67:68], v[76:77]
	v_add_f64 v[199:200], v[78:79], v[2:3]
	v_mul_f64 v[2:3], v[182:183], s[0:1]
	v_mul_f64 v[76:77], v[180:181], s[46:47]
	s_delay_alu instid0(VALU_DEP_2) | instskip(NEXT) | instid1(VALU_DEP_2)
	v_fma_f64 v[67:68], v[53:54], s[10:11], v[2:3]
	v_fma_f64 v[78:79], v[51:52], s[0:1], v[76:77]
	;; [unrolled: 1-line block ×3, first 2 shown]
	s_delay_alu instid0(VALU_DEP_3) | instskip(NEXT) | instid1(VALU_DEP_3)
	v_add_f64 v[67:68], v[67:68], v[209:210]
	v_add_f64 v[78:79], v[78:79], v[211:212]
	s_delay_alu instid0(VALU_DEP_2) | instskip(SKIP_1) | instid1(VALU_DEP_1)
	v_add_f64 v[67:68], v[82:83], v[67:68]
	v_mul_f64 v[82:83], v[174:175], s[28:29]
	v_fma_f64 v[94:95], v[47:48], s[12:13], v[82:83]
	s_delay_alu instid0(VALU_DEP_1) | instskip(SKIP_1) | instid1(VALU_DEP_1)
	v_add_f64 v[78:79], v[94:95], v[78:79]
	v_mul_f64 v[94:95], v[154:155], s[16:17]
	v_fma_f64 v[96:97], v[45:46], s[58:59], v[94:95]
	s_delay_alu instid0(VALU_DEP_1) | instskip(SKIP_1) | instid1(VALU_DEP_1)
	v_add_f64 v[67:68], v[96:97], v[67:68]
	v_mul_f64 v[96:97], v[150:151], s[18:19]
	v_fma_f64 v[98:99], v[43:44], s[16:17], v[96:97]
	s_delay_alu instid0(VALU_DEP_1) | instskip(SKIP_2) | instid1(VALU_DEP_2)
	v_add_f64 v[78:79], v[98:99], v[78:79]
	v_mul_f64 v[98:99], v[144:145], s[36:37]
	v_mul_f64 v[144:145], v[130:131], s[52:53]
	v_fma_f64 v[100:101], v[41:42], s[48:49], v[98:99]
	s_delay_alu instid0(VALU_DEP_1) | instskip(SKIP_1) | instid1(VALU_DEP_1)
	v_add_f64 v[67:68], v[100:101], v[67:68]
	v_mul_f64 v[100:101], v[142:143], s[42:43]
	v_fma_f64 v[142:143], v[39:40], s[36:37], v[100:101]
	s_delay_alu instid0(VALU_DEP_1) | instskip(SKIP_1) | instid1(VALU_DEP_1)
	v_add_f64 v[78:79], v[142:143], v[78:79]
	v_fma_f64 v[142:143], v[35:36], s[38:39], v[140:141]
	v_add_f64 v[67:68], v[142:143], v[67:68]
	v_fma_f64 v[142:143], v[31:32], s[30:31], v[138:139]
	s_delay_alu instid0(VALU_DEP_1) | instskip(SKIP_1) | instid1(VALU_DEP_1)
	v_add_f64 v[78:79], v[142:143], v[78:79]
	v_fma_f64 v[142:143], v[29:30], s[40:41], v[136:137]
	v_add_f64 v[67:68], v[142:143], v[67:68]
	v_fma_f64 v[142:143], v[33:34], s[24:25], v[134:135]
	s_delay_alu instid0(VALU_DEP_1) | instskip(SKIP_1) | instid1(VALU_DEP_1)
	v_add_f64 v[78:79], v[142:143], v[78:79]
	v_mul_f64 v[142:143], v[132:133], s[14:15]
	v_fma_f64 v[130:131], v[37:38], s[26:27], v[142:143]
	s_delay_alu instid0(VALU_DEP_1) | instskip(SKIP_1) | instid1(VALU_DEP_1)
	v_add_f64 v[130:131], v[130:131], v[67:68]
	v_fma_f64 v[67:68], v[70:71], s[14:15], v[144:145]
	v_add_f64 v[132:133], v[67:68], v[78:79]
	scratch_load_b64 v[67:68], off, off offset:212 ; 8-byte Folded Reload
	v_fma_f64 v[78:79], v[70:71], s[14:15], -v[144:145]
	s_waitcnt vmcnt(0)
	v_add_f64 v[2:3], v[2:3], v[67:68]
	v_fma_f64 v[67:68], v[51:52], s[0:1], -v[76:77]
	scratch_load_b64 v[76:77], off, off offset:204 ; 8-byte Folded Reload
	s_waitcnt vmcnt(0)
	v_add_f64 v[67:68], v[67:68], v[76:77]
	v_fma_f64 v[76:77], v[49:50], s[28:29], v[80:81]
	s_delay_alu instid0(VALU_DEP_1) | instskip(SKIP_1) | instid1(VALU_DEP_1)
	v_add_f64 v[2:3], v[76:77], v[2:3]
	v_fma_f64 v[76:77], v[47:48], s[12:13], -v[82:83]
	v_add_f64 v[67:68], v[76:77], v[67:68]
	v_fma_f64 v[76:77], v[45:46], s[18:19], v[94:95]
	s_delay_alu instid0(VALU_DEP_1) | instskip(SKIP_1) | instid1(VALU_DEP_1)
	v_add_f64 v[2:3], v[76:77], v[2:3]
	v_fma_f64 v[76:77], v[43:44], s[16:17], -v[96:97]
	;; [unrolled: 5-line block ×5, first 2 shown]
	v_add_f64 v[67:68], v[76:77], v[67:68]
	v_fma_f64 v[76:77], v[37:38], s[52:53], v[142:143]
	s_delay_alu instid0(VALU_DEP_2)
	v_add_f64 v[136:137], v[78:79], v[67:68]
	scratch_load_b64 v[67:68], off, off offset:196 ; 8-byte Folded Reload
	v_add_f64 v[134:135], v[76:77], v[2:3]
	scratch_load_b64 v[76:77], off, off offset:188 ; 8-byte Folded Reload
	v_fma_f64 v[2:3], v[53:54], s[56:57], v[247:248]
	s_waitcnt vmcnt(1)
	s_delay_alu instid0(VALU_DEP_1) | instskip(SKIP_2) | instid1(VALU_DEP_1)
	v_add_f64 v[2:3], v[2:3], v[67:68]
	v_fma_f64 v[67:68], v[51:52], s[12:13], -v[249:250]
	s_waitcnt vmcnt(0)
	v_add_f64 v[67:68], v[67:68], v[76:77]
	v_fma_f64 v[76:77], v[49:50], s[18:19], v[251:252]
	s_delay_alu instid0(VALU_DEP_1) | instskip(SKIP_1) | instid1(VALU_DEP_1)
	v_add_f64 v[2:3], v[76:77], v[2:3]
	v_fma_f64 v[76:77], v[47:48], s[16:17], -v[253:254]
	v_add_f64 v[67:68], v[76:77], v[67:68]
	v_fma_f64 v[76:77], v[45:46], s[38:39], v[233:234]
	s_delay_alu instid0(VALU_DEP_2) | instskip(NEXT) | instid1(VALU_DEP_2)
	v_add_f64 v[0:1], v[0:1], v[67:68]
	v_add_f64 v[2:3], v[76:77], v[2:3]
	s_delay_alu instid0(VALU_DEP_1) | instskip(SKIP_2) | instid1(VALU_DEP_2)
	v_add_f64 v[2:3], v[4:5], v[2:3]
	v_fma_f64 v[4:5], v[39:40], s[34:35], -v[6:7]
	v_fma_f64 v[6:7], v[70:71], s[36:37], -v[10:11]
	v_add_f64 v[0:1], v[4:5], v[0:1]
	v_fma_f64 v[4:5], v[35:36], s[52:53], v[8:9]
	s_delay_alu instid0(VALU_DEP_1) | instskip(SKIP_1) | instid1(VALU_DEP_1)
	v_add_f64 v[2:3], v[4:5], v[2:3]
	v_fma_f64 v[4:5], v[31:32], s[14:15], -v[12:13]
	v_add_f64 v[0:1], v[4:5], v[0:1]
	v_fma_f64 v[4:5], v[29:30], s[10:11], v[14:15]
	s_delay_alu instid0(VALU_DEP_1) | instskip(SKIP_1) | instid1(VALU_DEP_1)
	v_add_f64 v[2:3], v[4:5], v[2:3]
	v_fma_f64 v[4:5], v[33:34], s[0:1], -v[16:17]
	v_add_f64 v[0:1], v[4:5], v[0:1]
	v_fma_f64 v[4:5], v[37:38], s[42:43], v[18:19]
	s_delay_alu instid0(VALU_DEP_2) | instskip(NEXT) | instid1(VALU_DEP_2)
	v_add_f64 v[140:141], v[6:7], v[0:1]
	v_add_f64 v[138:139], v[4:5], v[2:3]
	s_clause 0x1
	scratch_load_b64 v[2:3], off, off offset:180
	scratch_load_b64 v[4:5], off, off offset:172
	v_fma_f64 v[0:1], v[53:54], s[50:51], v[217:218]
	v_fma_f64 v[6:7], v[70:71], s[16:17], -v[245:246]
	s_waitcnt vmcnt(1)
	s_delay_alu instid0(VALU_DEP_2) | instskip(SKIP_2) | instid1(VALU_DEP_1)
	v_add_f64 v[0:1], v[0:1], v[2:3]
	v_fma_f64 v[2:3], v[51:52], s[34:35], -v[219:220]
	s_waitcnt vmcnt(0)
	v_add_f64 v[2:3], v[2:3], v[4:5]
	v_fma_f64 v[4:5], v[49:50], s[40:41], v[221:222]
	s_delay_alu instid0(VALU_DEP_1) | instskip(SKIP_1) | instid1(VALU_DEP_1)
	v_add_f64 v[0:1], v[4:5], v[0:1]
	v_fma_f64 v[4:5], v[47:48], s[24:25], -v[223:224]
	v_add_f64 v[2:3], v[4:5], v[2:3]
	v_fma_f64 v[4:5], v[45:46], s[46:47], v[225:226]
	s_delay_alu instid0(VALU_DEP_1) | instskip(SKIP_1) | instid1(VALU_DEP_1)
	v_add_f64 v[0:1], v[4:5], v[0:1]
	v_fma_f64 v[4:5], v[43:44], s[0:1], -v[227:228]
	;; [unrolled: 5-line block ×5, first 2 shown]
	v_add_f64 v[2:3], v[4:5], v[2:3]
	v_fma_f64 v[4:5], v[37:38], s[18:19], v[243:244]
	s_delay_alu instid0(VALU_DEP_2)
	v_add_f64 v[100:101], v[6:7], v[2:3]
	scratch_load_b64 v[2:3], off, off offset:164 ; 8-byte Folded Reload
	v_add_f64 v[98:99], v[4:5], v[0:1]
	scratch_load_b64 v[4:5], off, off offset:156 ; 8-byte Folded Reload
	v_fma_f64 v[0:1], v[53:54], s[42:43], v[146:147]
	v_fma_f64 v[6:7], v[70:71], s[12:13], -v[184:185]
	s_waitcnt vmcnt(1)
	s_delay_alu instid0(VALU_DEP_2) | instskip(SKIP_2) | instid1(VALU_DEP_1)
	v_add_f64 v[0:1], v[0:1], v[2:3]
	v_fma_f64 v[2:3], v[51:52], s[36:37], -v[148:149]
	s_waitcnt vmcnt(0)
	v_add_f64 v[2:3], v[2:3], v[4:5]
	v_fma_f64 v[4:5], v[49:50], s[44:45], v[152:153]
	s_delay_alu instid0(VALU_DEP_1) | instskip(SKIP_1) | instid1(VALU_DEP_1)
	v_add_f64 v[0:1], v[4:5], v[0:1]
	v_fma_f64 v[4:5], v[47:48], s[34:35], -v[156:157]
	v_add_f64 v[2:3], v[4:5], v[2:3]
	v_fma_f64 v[4:5], v[45:46], s[40:41], v[158:159]
	s_delay_alu instid0(VALU_DEP_1) | instskip(SKIP_1) | instid1(VALU_DEP_1)
	v_add_f64 v[0:1], v[4:5], v[0:1]
	v_fma_f64 v[4:5], v[43:44], s[24:25], -v[160:161]
	;; [unrolled: 5-line block ×5, first 2 shown]
	v_add_f64 v[2:3], v[4:5], v[2:3]
	v_fma_f64 v[4:5], v[37:38], s[28:29], v[178:179]
	s_delay_alu instid0(VALU_DEP_2)
	v_add_f64 v[96:97], v[6:7], v[2:3]
	scratch_load_b64 v[2:3], off, off offset:52 ; 8-byte Folded Reload
	v_add_f64 v[94:95], v[4:5], v[0:1]
	scratch_load_b64 v[4:5], off, off offset:36 ; 8-byte Folded Reload
	v_fma_f64 v[0:1], v[53:54], s[26:27], v[102:103]
	v_fma_f64 v[6:7], v[70:71], s[0:1], -v[128:129]
	s_waitcnt vmcnt(1)
	s_delay_alu instid0(VALU_DEP_2) | instskip(SKIP_2) | instid1(VALU_DEP_1)
	v_add_f64 v[0:1], v[0:1], v[2:3]
	v_fma_f64 v[2:3], v[51:52], s[14:15], -v[104:105]
	s_waitcnt vmcnt(0)
	v_add_f64 v[2:3], v[2:3], v[4:5]
	v_fma_f64 v[4:5], v[49:50], s[42:43], v[106:107]
	s_delay_alu instid0(VALU_DEP_1) | instskip(SKIP_1) | instid1(VALU_DEP_1)
	v_add_f64 v[0:1], v[4:5], v[0:1]
	v_fma_f64 v[4:5], v[47:48], s[36:37], -v[108:109]
	v_add_f64 v[2:3], v[4:5], v[2:3]
	v_fma_f64 v[4:5], v[45:46], s[50:51], v[110:111]
	s_delay_alu instid0(VALU_DEP_1) | instskip(SKIP_1) | instid1(VALU_DEP_1)
	v_add_f64 v[0:1], v[4:5], v[0:1]
	v_fma_f64 v[4:5], v[43:44], s[34:35], -v[112:113]
	;; [unrolled: 5-line block ×5, first 2 shown]
	v_add_f64 v[2:3], v[4:5], v[2:3]
	v_fma_f64 v[4:5], v[37:38], s[46:47], v[126:127]
	s_delay_alu instid0(VALU_DEP_2) | instskip(NEXT) | instid1(VALU_DEP_2)
	v_add_f64 v[104:105], v[6:7], v[2:3]
	v_add_f64 v[102:103], v[4:5], v[0:1]
	s_clause 0x3
	scratch_load_b64 v[0:1], off, off offset:68
	scratch_load_b64 v[4:5], off, off offset:4
	;; [unrolled: 1-line block ×4, first 2 shown]
	s_waitcnt vmcnt(3)
	v_fma_f64 v[0:1], v[53:54], s[58:59], v[0:1]
	s_waitcnt vmcnt(2)
	s_delay_alu instid0(VALU_DEP_1) | instskip(SKIP_4) | instid1(VALU_DEP_1)
	v_add_f64 v[0:1], v[0:1], v[4:5]
	scratch_load_b64 v[4:5], off, off offset:20 ; 8-byte Folded Reload
	s_waitcnt vmcnt(2)
	v_fma_f64 v[2:3], v[51:52], s[16:17], -v[2:3]
	s_waitcnt vmcnt(0)
	v_add_f64 v[2:3], v[2:3], v[4:5]
	scratch_load_b64 v[4:5], off, off offset:84 ; 8-byte Folded Reload
	s_waitcnt vmcnt(0)
	v_fma_f64 v[4:5], v[49:50], s[38:39], v[4:5]
	s_delay_alu instid0(VALU_DEP_1) | instskip(SKIP_3) | instid1(VALU_DEP_1)
	v_add_f64 v[0:1], v[4:5], v[0:1]
	scratch_load_b64 v[4:5], off, off offset:116 ; 8-byte Folded Reload
	s_waitcnt vmcnt(0)
	v_fma_f64 v[4:5], v[45:46], s[26:27], v[4:5]
	v_add_f64 v[0:1], v[4:5], v[0:1]
	scratch_load_b64 v[4:5], off, off offset:132 ; 8-byte Folded Reload
	s_waitcnt vmcnt(0)
	v_fma_f64 v[4:5], v[41:42], s[54:55], v[4:5]
	s_delay_alu instid0(VALU_DEP_1) | instskip(SKIP_3) | instid1(VALU_DEP_1)
	v_add_f64 v[0:1], v[4:5], v[0:1]
	scratch_load_b64 v[4:5], off, off offset:148 ; 8-byte Folded Reload
	s_waitcnt vmcnt(0)
	v_fma_f64 v[4:5], v[35:36], s[42:43], v[4:5]
	v_add_f64 v[0:1], v[4:5], v[0:1]
	v_fma_f64 v[4:5], v[29:30], s[28:29], v[86:87]
	s_delay_alu instid0(VALU_DEP_1) | instskip(SKIP_1) | instid1(VALU_DEP_1)
	v_add_f64 v[0:1], v[4:5], v[0:1]
	v_fma_f64 v[4:5], v[37:38], s[50:51], v[90:91]
	v_add_f64 v[29:30], v[4:5], v[0:1]
	scratch_load_b32 v1, off, off           ; 4-byte Folded Reload
	v_fma_f64 v[6:7], v[47:48], s[30:31], -v[6:7]
	v_mul_u32_u24_e32 v0, 0x770, v190
	s_delay_alu instid0(VALU_DEP_2) | instskip(SKIP_3) | instid1(VALU_DEP_1)
	v_add_f64 v[2:3], v[6:7], v[2:3]
	scratch_load_b64 v[6:7], off, off offset:124 ; 8-byte Folded Reload
	s_waitcnt vmcnt(1)
	v_lshlrev_b32_e32 v37, 4, v1
	v_add3_u32 v0, 0, v0, v37
	ds_store_b128 v0, v[186:189]
	s_waitcnt vmcnt(0)
	v_fma_f64 v[6:7], v[43:44], s[14:15], -v[6:7]
	s_delay_alu instid0(VALU_DEP_1) | instskip(SKIP_3) | instid1(VALU_DEP_1)
	v_add_f64 v[2:3], v[6:7], v[2:3]
	scratch_load_b64 v[6:7], off, off offset:140 ; 8-byte Folded Reload
	s_waitcnt vmcnt(0)
	v_fma_f64 v[6:7], v[39:40], s[24:25], -v[6:7]
	v_add_f64 v[2:3], v[6:7], v[2:3]
	v_fma_f64 v[6:7], v[31:32], s[36:37], -v[84:85]
	s_delay_alu instid0(VALU_DEP_1) | instskip(SKIP_1) | instid1(VALU_DEP_1)
	v_add_f64 v[2:3], v[6:7], v[2:3]
	v_fma_f64 v[6:7], v[33:34], s[12:13], -v[88:89]
	v_add_f64 v[2:3], v[6:7], v[2:3]
	v_fma_f64 v[6:7], v[70:71], s[34:35], -v[92:93]
	s_delay_alu instid0(VALU_DEP_1)
	v_add_f64 v[31:32], v[6:7], v[2:3]
	ds_store_b128 v0, v[72:75] offset:112
	ds_store_b128 v0, v[63:66] offset:224
	;; [unrolled: 1-line block ×16, first 2 shown]
	s_waitcnt lgkmcnt(0)
	s_waitcnt_vscnt null, 0x0
	s_barrier
	buffer_gl0_inv
	s_and_saveexec_b32 s21, s7
	s_cbranch_execz .LBB0_48
; %bb.47:
	v_mul_lo_u16 v0, v190, 31
	s_movk_i32 s7, 0xff0
	v_mov_b32_e32 v105, v1
	s_delay_alu instid0(VALU_DEP_2) | instskip(NEXT) | instid1(VALU_DEP_1)
	v_lshrrev_b16 v0, 9, v0
	v_mul_lo_u16 v0, v0, 17
	s_delay_alu instid0(VALU_DEP_1) | instskip(NEXT) | instid1(VALU_DEP_1)
	v_sub_nc_u16 v0, v190, v0
	v_and_b32_e32 v90, 0xff, v0
	v_mul_u32_u24_e32 v0, 0x70, v190
	s_delay_alu instid0(VALU_DEP_2) | instskip(NEXT) | instid1(VALU_DEP_2)
	v_lshlrev_b32_e32 v39, 8, v90
	v_add3_u32 v40, 0, v0, v37
	s_clause 0x6
	global_load_b128 v[17:20], v39, s[22:23] offset:80
	global_load_b128 v[25:28], v39, s[22:23] offset:160
	;; [unrolled: 1-line block ×6, first 2 shown]
	global_load_b128 v[5:8], v39, s[22:23]
	ds_load_b128 v[41:44], v40 offset:11424
	ds_load_b128 v[9:12], v40 offset:13328
	;; [unrolled: 1-line block ×6, first 2 shown]
	s_waitcnt vmcnt(6) lgkmcnt(5)
	v_mul_f64 v[37:38], v[41:42], v[19:20]
	v_mul_f64 v[19:20], v[43:44], v[19:20]
	s_waitcnt vmcnt(5) lgkmcnt(3)
	v_mul_f64 v[49:50], v[45:46], v[27:28]
	v_mul_f64 v[27:28], v[47:48], v[27:28]
	s_delay_alu instid0(VALU_DEP_4) | instskip(NEXT) | instid1(VALU_DEP_4)
	v_fma_f64 v[66:67], v[43:44], v[17:18], v[37:38]
	v_fma_f64 v[74:75], v[41:42], v[17:18], -v[19:20]
	s_waitcnt vmcnt(4) lgkmcnt(1)
	v_mul_f64 v[17:18], v[57:58], v[31:32]
	v_mul_f64 v[19:20], v[59:60], v[31:32]
	ds_load_b128 v[41:44], v40 offset:22848
	v_fma_f64 v[51:52], v[47:48], v[25:26], v[49:50]
	v_fma_f64 v[64:65], v[45:46], v[25:26], -v[27:28]
	ds_load_b128 v[25:28], v40 offset:24752
	s_waitcnt vmcnt(3) lgkmcnt(1)
	v_mul_f64 v[31:32], v[41:42], v[23:24]
	v_mul_f64 v[23:24], v[43:44], v[23:24]
	s_waitcnt vmcnt(1) lgkmcnt(0)
	v_mul_f64 v[37:38], v[25:26], v[3:4]
	v_mul_f64 v[3:4], v[27:28], v[3:4]
	v_fma_f64 v[78:79], v[59:60], v[29:30], v[17:18]
	v_fma_f64 v[80:81], v[57:58], v[29:30], -v[19:20]
	v_mul_f64 v[29:30], v[70:71], v[35:36]
	v_mul_f64 v[35:36], v[72:73], v[35:36]
	global_load_b128 v[17:20], v39, s[22:23] offset:32
	v_add_f64 v[146:147], v[74:75], -v[64:65]
	v_add_f64 v[170:171], v[66:67], -v[51:52]
	v_add_f64 v[148:149], v[74:75], v[64:65]
	v_fma_f64 v[55:56], v[43:44], v[21:22], v[31:32]
	v_fma_f64 v[76:77], v[41:42], v[21:22], -v[23:24]
	global_load_b128 v[21:24], v39, s[22:23] offset:208
	v_fma_f64 v[82:83], v[25:26], v[1:2], -v[3:4]
	v_fma_f64 v[53:54], v[72:73], v[33:34], v[29:30]
	v_fma_f64 v[70:71], v[70:71], v[33:34], -v[35:36]
	ds_load_b128 v[29:32], v40 offset:1904
	ds_load_b128 v[33:36], v40
	v_fma_f64 v[72:73], v[27:28], v[1:2], v[37:38]
	global_load_b128 v[1:4], v39, s[22:23] offset:16
	v_mul_f64 v[224:225], v[170:171], s[42:43]
	v_add_f64 v[234:235], v[78:79], v[55:56]
	s_waitcnt vmcnt(3) lgkmcnt(1)
	v_mul_f64 v[25:26], v[29:30], v[7:8]
	v_mul_f64 v[7:8], v[31:32], v[7:8]
	v_add_f64 v[140:141], v[80:81], -v[76:77]
	v_add_f64 v[144:145], v[80:81], v[76:77]
	v_add_f64 v[134:135], v[70:71], -v[82:83]
	v_add_f64 v[138:139], v[70:71], v[82:83]
	v_fma_f64 v[93:94], v[31:32], v[5:6], v[25:26]
	v_fma_f64 v[97:98], v[29:30], v[5:6], -v[7:8]
	s_clause 0x1
	global_load_b128 v[5:8], v39, s[22:23] offset:240
	global_load_b128 v[29:32], v39, s[22:23] offset:224
	ds_load_b128 v[25:28], v40 offset:30464
	s_waitcnt vmcnt(1) lgkmcnt(0)
	v_mul_f64 v[37:38], v[25:26], v[7:8]
	v_mul_f64 v[7:8], v[27:28], v[7:8]
	s_delay_alu instid0(VALU_DEP_2) | instskip(NEXT) | instid1(VALU_DEP_2)
	v_fma_f64 v[84:85], v[27:28], v[5:6], v[37:38]
	v_fma_f64 v[91:92], v[25:26], v[5:6], -v[7:8]
	global_load_b128 v[5:8], v39, s[22:23] offset:112
	ds_load_b128 v[25:28], v40 offset:15232
	ds_load_b128 v[41:44], v40 offset:17136
	global_load_b128 v[45:48], v39, s[22:23] offset:96
	v_add_f64 v[244:245], v[93:94], v[84:85]
	v_add_f64 v[124:125], v[97:98], -v[91:92]
	v_add_f64 v[248:249], v[93:94], -v[84:85]
	v_add_f64 v[126:127], v[97:98], v[91:92]
	s_delay_alu instid0(VALU_DEP_4) | instskip(NEXT) | instid1(VALU_DEP_3)
	v_mul_f64 v[222:223], v[244:245], s[14:15]
	v_mul_f64 v[202:203], v[248:249], s[26:27]
	s_waitcnt vmcnt(1) lgkmcnt(1)
	v_mul_f64 v[37:38], v[25:26], v[7:8]
	v_mul_f64 v[7:8], v[27:28], v[7:8]
	s_delay_alu instid0(VALU_DEP_2) | instskip(NEXT) | instid1(VALU_DEP_2)
	v_fma_f64 v[95:96], v[27:28], v[5:6], v[37:38]
	v_fma_f64 v[99:100], v[25:26], v[5:6], -v[7:8]
	s_clause 0x1
	global_load_b128 v[5:8], v39, s[22:23] offset:128
	global_load_b128 v[25:28], v39, s[22:23] offset:144
	s_waitcnt vmcnt(1) lgkmcnt(0)
	v_mul_f64 v[37:38], v[41:42], v[7:8]
	v_mul_f64 v[7:8], v[43:44], v[7:8]
	s_delay_alu instid0(VALU_DEP_2) | instskip(NEXT) | instid1(VALU_DEP_2)
	v_fma_f64 v[101:102], v[43:44], v[5:6], v[37:38]
	v_fma_f64 v[43:44], v[41:42], v[5:6], -v[7:8]
	v_mul_f64 v[5:6], v[9:10], v[47:48]
	s_delay_alu instid0(VALU_DEP_3) | instskip(NEXT) | instid1(VALU_DEP_3)
	v_add_f64 v[172:173], v[95:96], -v[101:102]
	v_add_f64 v[154:155], v[99:100], v[43:44]
	s_delay_alu instid0(VALU_DEP_3) | instskip(SKIP_3) | instid1(VALU_DEP_3)
	v_fma_f64 v[106:107], v[11:12], v[45:46], v[5:6]
	v_mul_f64 v[5:6], v[11:12], v[47:48]
	v_add_f64 v[156:157], v[99:100], -v[43:44]
	v_mul_f64 v[230:231], v[172:173], s[50:51]
	v_fma_f64 v[108:109], v[9:10], v[45:46], -v[5:6]
	s_waitcnt vmcnt(0)
	v_mul_f64 v[5:6], v[13:14], v[27:28]
	s_delay_alu instid0(VALU_DEP_1) | instskip(SKIP_1) | instid1(VALU_DEP_1)
	v_fma_f64 v[103:104], v[15:16], v[25:26], v[5:6]
	v_mul_f64 v[5:6], v[15:16], v[27:28]
	v_fma_f64 v[27:28], v[13:14], v[25:26], -v[5:6]
	ds_load_b128 v[5:8], v40 offset:5712
	ds_load_b128 v[9:12], v40 offset:3808
	s_waitcnt lgkmcnt(1)
	v_mul_f64 v[13:14], v[5:6], v[19:20]
	v_add_f64 v[150:151], v[108:109], -v[27:28]
	v_add_f64 v[152:153], v[108:109], v[27:28]
	s_delay_alu instid0(VALU_DEP_3) | instskip(SKIP_1) | instid1(VALU_DEP_1)
	v_fma_f64 v[114:115], v[7:8], v[17:18], v[13:14]
	v_mul_f64 v[7:8], v[7:8], v[19:20]
	v_fma_f64 v[116:117], v[5:6], v[17:18], -v[7:8]
	ds_load_b128 v[5:8], v40 offset:26656
	ds_load_b128 v[13:16], v40 offset:28560
	s_waitcnt lgkmcnt(1)
	v_mul_f64 v[17:18], v[5:6], v[23:24]
	s_delay_alu instid0(VALU_DEP_1) | instskip(SKIP_1) | instid1(VALU_DEP_2)
	v_fma_f64 v[39:40], v[7:8], v[21:22], v[17:18]
	v_mul_f64 v[7:8], v[7:8], v[23:24]
	v_add_f64 v[252:253], v[114:115], v[39:40]
	s_delay_alu instid0(VALU_DEP_2) | instskip(SKIP_2) | instid1(VALU_DEP_3)
	v_fma_f64 v[110:111], v[5:6], v[21:22], -v[7:8]
	v_mul_f64 v[5:6], v[9:10], v[3:4]
	v_mul_f64 v[3:4], v[11:12], v[3:4]
	v_add_f64 v[130:131], v[116:117], -v[110:111]
	s_delay_alu instid0(VALU_DEP_3) | instskip(NEXT) | instid1(VALU_DEP_3)
	v_fma_f64 v[120:121], v[11:12], v[1:2], v[5:6]
	v_fma_f64 v[122:123], v[9:10], v[1:2], -v[3:4]
	s_waitcnt lgkmcnt(0)
	v_mul_f64 v[0:1], v[13:14], v[31:32]
	v_add_f64 v[132:133], v[116:117], v[110:111]
	s_delay_alu instid0(VALU_DEP_2) | instskip(SKIP_1) | instid1(VALU_DEP_2)
	v_fma_f64 v[112:113], v[15:16], v[29:30], v[0:1]
	v_mul_f64 v[0:1], v[15:16], v[31:32]
	v_add_f64 v[246:247], v[120:121], v[112:113]
	s_delay_alu instid0(VALU_DEP_2) | instskip(SKIP_2) | instid1(VALU_DEP_2)
	v_fma_f64 v[31:32], v[13:14], v[29:30], -v[0:1]
	v_mul_lo_u32 v0, v69, v90
	v_add_f64 v[250:251], v[120:121], -v[112:113]
	v_and_b32_e32 v1, 0xff, v0
	v_lshrrev_b32_e32 v0, 4, v0
	s_delay_alu instid0(VALU_DEP_2) | instskip(NEXT) | instid1(VALU_DEP_2)
	v_lshlrev_b32_e32 v1, 4, v1
	v_and_or_b32 v0, v0, s7, 0x1000
	s_clause 0x1
	global_load_b128 v[1:4], v1, s[8:9]
	global_load_b128 v[5:8], v0, s[8:9]
	v_mul_f64 v[204:205], v[246:247], s[34:35]
	v_mul_f64 v[176:177], v[250:251], s[50:51]
	s_waitcnt vmcnt(0)
	v_mul_f64 v[9:10], v[1:2], v[7:8]
	s_delay_alu instid0(VALU_DEP_1) | instskip(SKIP_1) | instid1(VALU_DEP_1)
	v_fma_f64 v[9:10], v[5:6], v[3:4], v[9:10]
	v_mul_f64 v[3:4], v[3:4], v[7:8]
	v_fma_f64 v[0:1], v[1:2], v[5:6], -v[3:4]
	s_clause 0x1
	scratch_store_b64 off, v[9:10], off offset:76
	scratch_store_b64 off, v[0:1], off offset:68
	v_add_nc_u32_e32 v0, 0x110, v90
	s_delay_alu instid0(VALU_DEP_1) | instskip(NEXT) | instid1(VALU_DEP_1)
	v_mul_lo_u32 v0, v69, v0
	v_and_b32_e32 v1, 0xff, v0
	v_lshrrev_b32_e32 v0, 4, v0
	s_delay_alu instid0(VALU_DEP_2) | instskip(NEXT) | instid1(VALU_DEP_2)
	v_lshlrev_b32_e32 v1, 4, v1
	v_and_or_b32 v0, v0, s7, 0x1000
	s_clause 0x1
	global_load_b128 v[1:4], v1, s[8:9]
	global_load_b128 v[5:8], v0, s[8:9]
	s_waitcnt vmcnt(0)
	v_mul_f64 v[9:10], v[3:4], v[7:8]
	s_delay_alu instid0(VALU_DEP_1) | instskip(SKIP_1) | instid1(VALU_DEP_1)
	v_fma_f64 v[58:59], v[1:2], v[5:6], -v[9:10]
	v_mul_f64 v[0:1], v[1:2], v[7:8]
	v_fma_f64 v[60:61], v[3:4], v[5:6], v[0:1]
	v_add_nc_u32_e32 v0, 0xff, v90
	s_delay_alu instid0(VALU_DEP_1) | instskip(NEXT) | instid1(VALU_DEP_1)
	v_mul_lo_u32 v0, v69, v0
	v_and_b32_e32 v1, 0xff, v0
	v_lshrrev_b32_e32 v0, 4, v0
	s_delay_alu instid0(VALU_DEP_2) | instskip(NEXT) | instid1(VALU_DEP_2)
	v_lshlrev_b32_e32 v1, 4, v1
	v_and_or_b32 v0, v0, s7, 0x1000
	s_clause 0x1
	global_load_b128 v[1:4], v1, s[8:9]
	global_load_b128 v[5:8], v0, s[8:9]
	s_waitcnt vmcnt(0)
	v_mul_f64 v[13:14], v[3:4], v[7:8]
	s_delay_alu instid0(VALU_DEP_1) | instskip(SKIP_2) | instid1(VALU_DEP_2)
	v_fma_f64 v[62:63], v[1:2], v[5:6], -v[13:14]
	v_mul_f64 v[0:1], v[1:2], v[7:8]
	v_add_f64 v[12:13], v[53:54], v[72:73]
	v_fma_f64 v[15:16], v[3:4], v[5:6], v[0:1]
	v_add_nc_u32_e32 v0, 0xee, v90
	s_delay_alu instid0(VALU_DEP_1) | instskip(NEXT) | instid1(VALU_DEP_1)
	v_mul_lo_u32 v0, v69, v0
	v_and_b32_e32 v1, 0xff, v0
	v_lshrrev_b32_e32 v0, 4, v0
	s_delay_alu instid0(VALU_DEP_2) | instskip(NEXT) | instid1(VALU_DEP_2)
	v_lshlrev_b32_e32 v1, 4, v1
	v_and_or_b32 v0, v0, s7, 0x1000
	s_clause 0x1
	global_load_b128 v[1:4], v1, s[8:9]
	global_load_b128 v[5:8], v0, s[8:9]
	s_waitcnt vmcnt(0)
	v_mul_f64 v[17:18], v[3:4], v[7:8]
	s_delay_alu instid0(VALU_DEP_1) | instskip(SKIP_1) | instid1(VALU_DEP_1)
	v_fma_f64 v[17:18], v[1:2], v[5:6], -v[17:18]
	v_mul_f64 v[0:1], v[1:2], v[7:8]
	v_fma_f64 v[19:20], v[3:4], v[5:6], v[0:1]
	v_add_nc_u32_e32 v0, 0xdd, v90
	s_delay_alu instid0(VALU_DEP_1) | instskip(NEXT) | instid1(VALU_DEP_1)
	v_mul_lo_u32 v0, v69, v0
	v_and_b32_e32 v1, 0xff, v0
	v_lshrrev_b32_e32 v0, 4, v0
	s_delay_alu instid0(VALU_DEP_2) | instskip(NEXT) | instid1(VALU_DEP_2)
	v_lshlrev_b32_e32 v1, 4, v1
	v_and_or_b32 v0, v0, s7, 0x1000
	s_clause 0x1
	global_load_b128 v[1:4], v1, s[8:9]
	global_load_b128 v[5:8], v0, s[8:9]
	s_waitcnt vmcnt(0)
	v_mul_f64 v[21:22], v[3:4], v[7:8]
	s_delay_alu instid0(VALU_DEP_1) | instskip(SKIP_1) | instid1(VALU_DEP_1)
	v_fma_f64 v[21:22], v[1:2], v[5:6], -v[21:22]
	v_mul_f64 v[0:1], v[1:2], v[7:8]
	;; [unrolled: 17-line block ×4, first 2 shown]
	v_fma_f64 v[238:239], v[3:4], v[5:6], v[0:1]
	v_add_nc_u32_e32 v0, 0xaa, v90
	s_delay_alu instid0(VALU_DEP_1) | instskip(NEXT) | instid1(VALU_DEP_1)
	v_mul_lo_u32 v0, v69, v0
	v_and_b32_e32 v1, 0xff, v0
	v_lshrrev_b32_e32 v0, 4, v0
	s_delay_alu instid0(VALU_DEP_2) | instskip(NEXT) | instid1(VALU_DEP_2)
	v_lshlrev_b32_e32 v1, 4, v1
	v_and_or_b32 v0, v0, s7, 0x1000
	s_clause 0x1
	global_load_b128 v[1:4], v1, s[8:9]
	global_load_b128 v[5:8], v0, s[8:9]
	v_add_nc_u32_e32 v0, 0x99, v90
	s_delay_alu instid0(VALU_DEP_1) | instskip(SKIP_2) | instid1(VALU_DEP_1)
	v_mul_lo_u32 v0, v69, v0
	s_waitcnt vmcnt(0)
	v_mul_f64 v[29:30], v[1:2], v[7:8]
	v_fma_f64 v[240:241], v[3:4], v[5:6], v[29:30]
	v_mul_f64 v[3:4], v[3:4], v[7:8]
	s_delay_alu instid0(VALU_DEP_1) | instskip(SKIP_2) | instid1(VALU_DEP_2)
	v_fma_f64 v[242:243], v[1:2], v[5:6], -v[3:4]
	v_and_b32_e32 v1, 0xff, v0
	v_lshrrev_b32_e32 v0, 4, v0
	v_lshlrev_b32_e32 v1, 4, v1
	s_delay_alu instid0(VALU_DEP_2) | instskip(SKIP_4) | instid1(VALU_DEP_1)
	v_and_or_b32 v0, v0, s7, 0x1000
	s_clause 0x1
	global_load_b128 v[1:4], v1, s[8:9]
	global_load_b128 v[5:8], v0, s[8:9]
	v_add_nc_u32_e32 v0, 0x88, v90
	v_mul_lo_u32 v0, v69, v0
	s_waitcnt vmcnt(0)
	v_mul_f64 v[29:30], v[1:2], v[7:8]
	s_delay_alu instid0(VALU_DEP_1) | instskip(SKIP_1) | instid1(VALU_DEP_1)
	v_fma_f64 v[86:87], v[3:4], v[5:6], v[29:30]
	v_mul_f64 v[3:4], v[3:4], v[7:8]
	v_fma_f64 v[88:89], v[1:2], v[5:6], -v[3:4]
	v_and_b32_e32 v1, 0xff, v0
	v_lshrrev_b32_e32 v0, 4, v0
	s_delay_alu instid0(VALU_DEP_2) | instskip(NEXT) | instid1(VALU_DEP_2)
	v_lshlrev_b32_e32 v1, 4, v1
	v_and_or_b32 v0, v0, s7, 0x1000
	s_clause 0x1
	global_load_b128 v[1:4], v1, s[8:9]
	global_load_b128 v[5:8], v0, s[8:9]
	s_waitcnt vmcnt(0)
	v_mul_f64 v[37:38], v[1:2], v[7:8]
	s_delay_alu instid0(VALU_DEP_1) | instskip(SKIP_2) | instid1(VALU_DEP_2)
	v_fma_f64 v[9:10], v[3:4], v[5:6], v[37:38]
	v_mul_f64 v[3:4], v[3:4], v[7:8]
	v_mul_f64 v[37:38], v[170:171], s[52:53]
	v_fma_f64 v[0:1], v[1:2], v[5:6], -v[3:4]
	s_clause 0x1
	scratch_store_b64 off, v[9:10], off offset:684
	scratch_store_b64 off, v[0:1], off offset:676
	v_add_nc_u32_e32 v0, 0x77, v90
	s_delay_alu instid0(VALU_DEP_1) | instskip(NEXT) | instid1(VALU_DEP_1)
	v_mul_lo_u32 v0, v69, v0
	v_and_b32_e32 v1, 0xff, v0
	v_lshrrev_b32_e32 v0, 4, v0
	s_delay_alu instid0(VALU_DEP_2) | instskip(NEXT) | instid1(VALU_DEP_2)
	v_lshlrev_b32_e32 v1, 4, v1
	v_and_or_b32 v0, v0, s7, 0x1000
	s_clause 0x1
	global_load_b128 v[1:4], v1, s[8:9]
	global_load_b128 v[5:8], v0, s[8:9]
	s_waitcnt vmcnt(0)
	v_mul_f64 v[41:42], v[1:2], v[7:8]
	s_delay_alu instid0(VALU_DEP_1) | instskip(SKIP_1) | instid1(VALU_DEP_1)
	v_fma_f64 v[9:10], v[3:4], v[5:6], v[41:42]
	v_mul_f64 v[3:4], v[3:4], v[7:8]
	v_fma_f64 v[0:1], v[1:2], v[5:6], -v[3:4]
	s_clause 0x1
	scratch_store_b64 off, v[9:10], off offset:604
	scratch_store_b64 off, v[0:1], off offset:596
	v_add_nc_u32_e32 v0, 0x66, v90
	s_delay_alu instid0(VALU_DEP_1) | instskip(NEXT) | instid1(VALU_DEP_1)
	v_mul_lo_u32 v0, v69, v0
	v_and_b32_e32 v1, 0xff, v0
	v_lshrrev_b32_e32 v0, 4, v0
	s_delay_alu instid0(VALU_DEP_2) | instskip(NEXT) | instid1(VALU_DEP_2)
	v_lshlrev_b32_e32 v1, 4, v1
	v_and_or_b32 v0, v0, s7, 0x1000
	s_clause 0x1
	global_load_b128 v[1:4], v1, s[8:9]
	global_load_b128 v[5:8], v0, s[8:9]
	s_waitcnt vmcnt(0)
	v_mul_f64 v[45:46], v[1:2], v[7:8]
	s_delay_alu instid0(VALU_DEP_1) | instskip(SKIP_2) | instid1(VALU_DEP_2)
	v_fma_f64 v[9:10], v[3:4], v[5:6], v[45:46]
	v_mul_f64 v[3:4], v[3:4], v[7:8]
	v_mul_f64 v[45:46], v[12:13], s[30:31]
	v_fma_f64 v[0:1], v[1:2], v[5:6], -v[3:4]
	scratch_store_b64 off, v[9:10], off offset:580 ; 8-byte Folded Spill
	v_fma_f64 v[160:161], v[134:135], s[60:61], v[45:46]
	scratch_store_b64 off, v[0:1], off offset:572 ; 8-byte Folded Spill
	v_add_nc_u32_e32 v0, 34, v90
	s_delay_alu instid0(VALU_DEP_1) | instskip(NEXT) | instid1(VALU_DEP_1)
	v_mul_lo_u32 v0, v69, v0
	v_and_b32_e32 v1, 0xff, v0
	v_lshrrev_b32_e32 v0, 4, v0
	s_delay_alu instid0(VALU_DEP_2) | instskip(NEXT) | instid1(VALU_DEP_2)
	v_lshlrev_b32_e32 v1, 4, v1
	v_and_or_b32 v0, v0, s7, 0x1000
	s_clause 0x1
	global_load_b128 v[1:4], v1, s[8:9]
	global_load_b128 v[5:8], v0, s[8:9]
	s_waitcnt vmcnt(0)
	v_mul_f64 v[118:119], v[1:2], v[7:8]
	s_delay_alu instid0(VALU_DEP_1) | instskip(SKIP_1) | instid1(VALU_DEP_1)
	v_fma_f64 v[9:10], v[3:4], v[5:6], v[118:119]
	v_mul_f64 v[3:4], v[3:4], v[7:8]
	v_fma_f64 v[0:1], v[1:2], v[5:6], -v[3:4]
	s_clause 0x1
	scratch_store_b64 off, v[9:10], off offset:444
	scratch_store_b64 off, v[0:1], off offset:436
	v_add_nc_u32_e32 v0, 17, v90
	s_delay_alu instid0(VALU_DEP_1) | instskip(NEXT) | instid1(VALU_DEP_1)
	v_mul_lo_u32 v0, v69, v0
	v_and_b32_e32 v1, 0xff, v0
	v_lshrrev_b32_e32 v0, 4, v0
	s_delay_alu instid0(VALU_DEP_2) | instskip(NEXT) | instid1(VALU_DEP_2)
	v_lshlrev_b32_e32 v1, 4, v1
	v_and_or_b32 v0, v0, s7, 0x1000
	s_clause 0x1
	global_load_b128 v[1:4], v1, s[8:9]
	global_load_b128 v[5:8], v0, s[8:9]
	s_waitcnt vmcnt(0)
	v_mul_f64 v[118:119], v[1:2], v[7:8]
	s_delay_alu instid0(VALU_DEP_1) | instskip(SKIP_1) | instid1(VALU_DEP_1)
	v_fma_f64 v[9:10], v[3:4], v[5:6], v[118:119]
	v_mul_f64 v[3:4], v[3:4], v[7:8]
	v_fma_f64 v[0:1], v[1:2], v[5:6], -v[3:4]
	s_clause 0x1
	scratch_store_b64 off, v[9:10], off offset:428
	scratch_store_b64 off, v[0:1], off offset:420
	;; [unrolled: 20-line block ×4, first 2 shown]
	v_add_nc_u32_e32 v0, 51, v90
	s_delay_alu instid0(VALU_DEP_1) | instskip(SKIP_1) | instid1(VALU_DEP_2)
	v_mul_lo_u32 v0, v69, v0
	v_add_f64 v[68:69], v[106:107], -v[103:104]
	v_and_b32_e32 v1, 0xff, v0
	v_lshrrev_b32_e32 v0, 4, v0
	s_delay_alu instid0(VALU_DEP_2) | instskip(NEXT) | instid1(VALU_DEP_2)
	v_lshlrev_b32_e32 v1, 4, v1
	v_and_or_b32 v0, v0, s7, 0x1000
	s_clause 0x1
	global_load_b128 v[1:4], v1, s[8:9]
	global_load_b128 v[5:8], v0, s[8:9]
	v_mul_f64 v[228:229], v[68:69], s[28:29]
	s_waitcnt vmcnt(0)
	v_mul_f64 v[118:119], v[1:2], v[7:8]
	s_delay_alu instid0(VALU_DEP_1)
	v_fma_f64 v[9:10], v[3:4], v[5:6], v[118:119]
	v_mul_f64 v[3:4], v[3:4], v[7:8]
	scratch_store_b64 off, v[9:10], off offset:124 ; 8-byte Folded Spill
	v_fma_f64 v[0:1], v[1:2], v[5:6], -v[3:4]
	s_clause 0x2
	scratch_store_b64 off, v[0:1], off offset:116
	scratch_store_b64 off, v[84:85], off offset:132
	;; [unrolled: 1-line block ×3, first 2 shown]
	v_mul_f64 v[0:1], v[244:245], s[0:1]
	v_mov_b32_e32 v4, v31
	v_dual_mov_b32 v6, v122 :: v_dual_mov_b32 v5, v32
	v_mov_b32_e32 v7, v123
	s_clause 0x1
	scratch_store_b64 off, v[91:92], off offset:140
	scratch_store_b64 off, v[97:98], off offset:212
	v_mul_f64 v[2:3], v[246:247], s[16:17]
	v_mov_b32_e32 v32, v255
	v_add_f64 v[254:255], v[114:115], -v[39:40]
	v_add_f64 v[122:123], v[6:7], -v[4:5]
	v_add_f64 v[128:129], v[6:7], v[4:5]
	v_add_f64 v[10:11], v[53:54], -v[72:73]
	v_add_f64 v[8:9], v[66:67], v[51:52]
	v_mul_f64 v[84:85], v[252:253], s[36:37]
	scratch_store_b64 off, v[0:1], off offset:612 ; 8-byte Folded Spill
	v_fma_f64 v[0:1], v[124:125], s[46:47], v[0:1]
	s_clause 0x3
	scratch_store_b64 off, v[112:113], off offset:148
	scratch_store_b64 off, v[120:121], off offset:228
	scratch_store_b64 off, v[4:5], off offset:156
	scratch_store_b64 off, v[6:7], off offset:236
	v_mul_f64 v[4:5], v[250:251], s[58:59]
	scratch_store_b64 off, v[2:3], off offset:620 ; 8-byte Folded Spill
	v_mul_f64 v[112:113], v[246:247], s[14:15]
	v_fma_f64 v[2:3], v[122:123], s[18:19], v[2:3]
	v_mul_f64 v[174:175], v[8:9], s[24:25]
	v_add_f64 v[0:1], v[35:36], v[0:1]
	scratch_store_b64 off, v[4:5], off offset:636 ; 8-byte Folded Spill
	v_fma_f64 v[4:5], v[128:129], s[16:17], v[4:5]
	v_add_f64 v[0:1], v[2:3], v[0:1]
	v_mul_f64 v[2:3], v[248:249], s[10:11]
	scratch_store_b64 off, v[2:3], off offset:628 ; 8-byte Folded Spill
	v_fma_f64 v[2:3], v[126:127], s[0:1], v[2:3]
	s_clause 0x3
	scratch_store_b64 off, v[39:40], off offset:180
	scratch_store_b64 off, v[114:115], off offset:252
	;; [unrolled: 1-line block ×4, first 2 shown]
	v_mul_f64 v[116:117], v[244:245], s[16:17]
	v_mul_f64 v[114:115], v[248:249], s[58:59]
	;; [unrolled: 1-line block ×4, first 2 shown]
	v_add_f64 v[2:3], v[33:34], v[2:3]
	s_delay_alu instid0(VALU_DEP_1) | instskip(SKIP_3) | instid1(VALU_DEP_1)
	v_add_f64 v[2:3], v[4:5], v[2:3]
	v_mul_f64 v[4:5], v[252:253], s[30:31]
	scratch_store_b64 off, v[4:5], off offset:644 ; 8-byte Folded Spill
	v_fma_f64 v[4:5], v[130:131], s[60:61], v[4:5]
	v_add_f64 v[0:1], v[4:5], v[0:1]
	v_mul_f64 v[4:5], v[254:255], s[38:39]
	scratch_store_b64 off, v[4:5], off offset:652 ; 8-byte Folded Spill
	v_fma_f64 v[4:5], v[132:133], s[30:31], v[4:5]
	s_clause 0x3
	scratch_store_b64 off, v[53:54], off offset:284
	scratch_store_b64 off, v[72:73], off offset:204
	;; [unrolled: 1-line block ×4, first 2 shown]
	v_mul_f64 v[82:83], v[254:255], s[42:43]
	v_mul_f64 v[70:71], v[68:69], s[60:61]
	v_add_f64 v[2:3], v[4:5], v[2:3]
	v_mul_f64 v[4:5], v[12:13], s[14:15]
	scratch_store_b64 off, v[4:5], off offset:660 ; 8-byte Folded Spill
	v_fma_f64 v[6:7], v[134:135], s[52:53], v[4:5]
	v_mul_f64 v[4:5], v[10:11], s[26:27]
	s_delay_alu instid0(VALU_DEP_2)
	v_add_f64 v[0:1], v[6:7], v[0:1]
	scratch_store_b64 off, v[4:5], off offset:668 ; 8-byte Folded Spill
	v_fma_f64 v[53:54], v[138:139], s[14:15], v[4:5]
	v_mul_f64 v[4:5], v[234:235], s[24:25]
	s_clause 0x3
	scratch_store_b64 off, v[55:56], off offset:268
	scratch_store_b64 off, v[78:79], off offset:316
	;; [unrolled: 1-line block ×4, first 2 shown]
	v_add_f64 v[6:7], v[106:107], v[103:104]
	v_mul_f64 v[80:81], v[10:11], s[50:51]
	v_add_f64 v[2:3], v[53:54], v[2:3]
	v_fma_f64 v[53:54], v[140:141], s[40:41], v[4:5]
	scratch_store_b64 off, v[4:5], off offset:692 ; 8-byte Folded Spill
	v_mul_f64 v[226:227], v[6:7], s[12:13]
	v_mul_f64 v[72:73], v[6:7], s[30:31]
	;; [unrolled: 1-line block ×3, first 2 shown]
	v_add_f64 v[0:1], v[53:54], v[0:1]
	v_add_f64 v[53:54], v[78:79], -v[55:56]
	v_mul_f64 v[78:79], v[234:235], s[12:13]
	s_delay_alu instid0(VALU_DEP_2)
	v_mul_f64 v[4:5], v[53:54], s[54:55]
	v_mul_f64 v[76:77], v[53:54], s[56:57]
	;; [unrolled: 1-line block ×3, first 2 shown]
	scratch_store_b64 off, v[4:5], off offset:700 ; 8-byte Folded Spill
	v_fma_f64 v[56:57], v[144:145], s[24:25], v[4:5]
	v_mul_f64 v[4:5], v[8:9], s[36:37]
	s_clause 0x3
	scratch_store_b64 off, v[51:52], off offset:300
	scratch_store_b64 off, v[66:67], off offset:340
	;; [unrolled: 1-line block ×4, first 2 shown]
	v_mul_f64 v[74:75], v[170:171], s[40:41]
	v_mul_f64 v[66:67], v[172:173], s[46:47]
	;; [unrolled: 1-line block ×3, first 2 shown]
	v_add_f64 v[2:3], v[56:57], v[2:3]
	v_fma_f64 v[56:57], v[146:147], s[48:49], v[4:5]
	scratch_store_b64 off, v[4:5], off offset:708 ; 8-byte Folded Spill
	v_add_f64 v[4:5], v[95:96], v[101:102]
	s_clause 0x3
	scratch_store_b64 off, v[103:104], off offset:356
	scratch_store_b64 off, v[106:107], off offset:372
	;; [unrolled: 1-line block ×4, first 2 shown]
	v_mul_f64 v[108:109], v[12:13], s[34:35]
	s_clause 0x3
	scratch_store_b64 off, v[95:96], off offset:404
	scratch_store_b64 off, v[101:102], off offset:388
	scratch_store_b64 off, v[99:100], off offset:412
	scratch_store_b64 off, v[43:44], off offset:396
	v_mul_f64 v[43:44], v[234:235], s[34:35]
	v_add_f64 v[0:1], v[56:57], v[0:1]
	v_fma_f64 v[56:57], v[148:149], s[36:37], v[224:225]
	v_mul_f64 v[232:233], v[4:5], s[34:35]
	v_mul_f64 v[64:65], v[4:5], s[0:1]
	s_delay_alu instid0(VALU_DEP_3) | instskip(SKIP_1) | instid1(VALU_DEP_1)
	v_add_f64 v[2:3], v[56:57], v[2:3]
	v_fma_f64 v[56:57], v[150:151], s[56:57], v[226:227]
	v_add_f64 v[0:1], v[56:57], v[0:1]
	v_fma_f64 v[56:57], v[152:153], s[12:13], v[228:229]
	s_delay_alu instid0(VALU_DEP_1) | instskip(SKIP_1) | instid1(VALU_DEP_1)
	v_add_f64 v[2:3], v[56:57], v[2:3]
	v_fma_f64 v[56:57], v[154:155], s[34:35], v[230:231]
	v_add_f64 v[2:3], v[56:57], v[2:3]
	v_fma_f64 v[56:57], v[156:157], s[44:45], v[232:233]
	s_delay_alu instid0(VALU_DEP_1) | instskip(NEXT) | instid1(VALU_DEP_3)
	v_add_f64 v[0:1], v[56:57], v[0:1]
	v_mul_f64 v[56:57], v[2:3], v[60:61]
	s_delay_alu instid0(VALU_DEP_2) | instskip(NEXT) | instid1(VALU_DEP_2)
	v_mul_f64 v[60:61], v[0:1], v[60:61]
	v_fma_f64 v[27:28], v[0:1], v[58:59], v[56:57]
	v_fma_f64 v[56:57], v[122:123], s[52:53], v[112:113]
	s_delay_alu instid0(VALU_DEP_3) | instskip(SKIP_2) | instid1(VALU_DEP_2)
	v_fma_f64 v[25:26], v[2:3], v[58:59], -v[60:61]
	v_fma_f64 v[2:3], v[124:125], s[18:19], v[116:117]
	v_fma_f64 v[58:59], v[128:129], s[14:15], v[110:111]
	v_add_f64 v[2:3], v[35:36], v[2:3]
	s_delay_alu instid0(VALU_DEP_1) | instskip(SKIP_1) | instid1(VALU_DEP_1)
	v_add_f64 v[2:3], v[56:57], v[2:3]
	v_fma_f64 v[56:57], v[126:127], s[16:17], v[114:115]
	v_add_f64 v[56:57], v[33:34], v[56:57]
	s_delay_alu instid0(VALU_DEP_1) | instskip(SKIP_1) | instid1(VALU_DEP_1)
	v_add_f64 v[56:57], v[58:59], v[56:57]
	v_fma_f64 v[58:59], v[130:131], s[48:49], v[84:85]
	v_add_f64 v[2:3], v[58:59], v[2:3]
	v_fma_f64 v[58:59], v[132:133], s[36:37], v[82:83]
	s_delay_alu instid0(VALU_DEP_1) | instskip(SKIP_1) | instid1(VALU_DEP_1)
	v_add_f64 v[56:57], v[58:59], v[56:57]
	v_fma_f64 v[58:59], v[134:135], s[44:45], v[108:109]
	v_add_f64 v[2:3], v[58:59], v[2:3]
	v_fma_f64 v[58:59], v[138:139], s[34:35], v[80:81]
	s_delay_alu instid0(VALU_DEP_1) | instskip(SKIP_1) | instid1(VALU_DEP_1)
	v_add_f64 v[56:57], v[58:59], v[56:57]
	v_fma_f64 v[58:59], v[140:141], s[28:29], v[78:79]
	v_add_f64 v[2:3], v[58:59], v[2:3]
	v_fma_f64 v[58:59], v[144:145], s[12:13], v[76:77]
	s_delay_alu instid0(VALU_DEP_1) | instskip(SKIP_1) | instid1(VALU_DEP_1)
	v_add_f64 v[56:57], v[58:59], v[56:57]
	v_fma_f64 v[58:59], v[146:147], s[54:55], v[174:175]
	v_add_f64 v[2:3], v[58:59], v[2:3]
	v_fma_f64 v[58:59], v[148:149], s[24:25], v[74:75]
	s_delay_alu instid0(VALU_DEP_1) | instskip(SKIP_1) | instid1(VALU_DEP_1)
	v_add_f64 v[56:57], v[58:59], v[56:57]
	v_fma_f64 v[58:59], v[150:151], s[38:39], v[72:73]
	v_add_f64 v[2:3], v[58:59], v[2:3]
	v_fma_f64 v[58:59], v[152:153], s[30:31], v[70:71]
	s_delay_alu instid0(VALU_DEP_1) | instskip(SKIP_1) | instid1(VALU_DEP_1)
	v_add_f64 v[56:57], v[58:59], v[56:57]
	v_fma_f64 v[58:59], v[154:155], s[0:1], v[66:67]
	v_add_f64 v[56:57], v[58:59], v[56:57]
	v_fma_f64 v[58:59], v[156:157], s[10:11], v[64:65]
	s_delay_alu instid0(VALU_DEP_1) | instskip(NEXT) | instid1(VALU_DEP_3)
	v_add_f64 v[2:3], v[58:59], v[2:3]
	v_mul_f64 v[58:59], v[56:57], v[15:16]
	s_delay_alu instid0(VALU_DEP_2) | instskip(NEXT) | instid1(VALU_DEP_2)
	v_mul_f64 v[14:15], v[2:3], v[15:16]
	v_fma_f64 v[2:3], v[2:3], v[62:63], v[58:59]
	s_delay_alu instid0(VALU_DEP_2)
	v_fma_f64 v[0:1], v[56:57], v[62:63], -v[14:15]
	scratch_store_b128 off, v[25:28], off offset:4 ; 16-byte Folded Spill
	v_mul_f64 v[61:62], v[246:247], s[12:13]
	v_mul_f64 v[28:29], v[68:69], s[10:11]
	;; [unrolled: 1-line block ×3, first 2 shown]
	scratch_store_b128 off, v[0:3], off offset:20 ; 16-byte Folded Spill
	v_mul_f64 v[0:1], v[244:245], s[30:31]
	scratch_store_b64 off, v[0:1], off offset:460 ; 8-byte Folded Spill
	v_fma_f64 v[14:15], v[124:125], s[60:61], v[0:1]
	v_mul_f64 v[0:1], v[246:247], s[36:37]
	s_delay_alu instid0(VALU_DEP_2) | instskip(SKIP_4) | instid1(VALU_DEP_3)
	v_add_f64 v[56:57], v[35:36], v[14:15]
	scratch_store_b64 off, v[0:1], off offset:452 ; 8-byte Folded Spill
	v_fma_f64 v[58:59], v[122:123], s[48:49], v[0:1]
	v_mul_f64 v[0:1], v[248:249], s[38:39]
	v_mul_f64 v[14:15], v[248:249], s[28:29]
	v_add_f64 v[56:57], v[58:59], v[56:57]
	scratch_store_b64 off, v[0:1], off offset:476 ; 8-byte Folded Spill
	v_fma_f64 v[58:59], v[126:127], s[30:31], v[0:1]
	v_mul_f64 v[0:1], v[250:251], s[42:43]
	s_delay_alu instid0(VALU_DEP_2) | instskip(SKIP_3) | instid1(VALU_DEP_2)
	v_add_f64 v[58:59], v[33:34], v[58:59]
	scratch_store_b64 off, v[0:1], off offset:468 ; 8-byte Folded Spill
	v_fma_f64 v[178:179], v[128:129], s[36:37], v[0:1]
	v_mul_f64 v[0:1], v[252:253], s[34:35]
	v_add_f64 v[58:59], v[178:179], v[58:59]
	scratch_store_b64 off, v[0:1], off offset:484 ; 8-byte Folded Spill
	v_fma_f64 v[180:181], v[130:131], s[50:51], v[0:1]
	v_mul_f64 v[0:1], v[254:255], s[44:45]
	s_delay_alu instid0(VALU_DEP_2) | instskip(SKIP_3) | instid1(VALU_DEP_2)
	v_add_f64 v[56:57], v[180:181], v[56:57]
	scratch_store_b64 off, v[0:1], off offset:500 ; 8-byte Folded Spill
	v_fma_f64 v[180:181], v[132:133], s[34:35], v[0:1]
	;; [unrolled: 9-line block ×6, first 2 shown]
	v_mul_f64 v[0:1], v[172:173], s[28:29]
	v_add_f64 v[58:59], v[196:197], v[58:59]
	scratch_store_b64 off, v[0:1], off offset:556 ; 8-byte Folded Spill
	v_fma_f64 v[200:201], v[154:155], s[12:13], v[0:1]
	v_mul_f64 v[0:1], v[4:5], s[12:13]
	s_delay_alu instid0(VALU_DEP_2) | instskip(NEXT) | instid1(VALU_DEP_2)
	v_add_f64 v[58:59], v[200:201], v[58:59]
	v_fma_f64 v[118:119], v[156:157], s[56:57], v[0:1]
	scratch_store_b64 off, v[0:1], off offset:588 ; 8-byte Folded Spill
	v_add_f64 v[56:57], v[118:119], v[56:57]
	v_mul_f64 v[118:119], v[58:59], v[19:20]
	s_delay_alu instid0(VALU_DEP_2) | instskip(NEXT) | instid1(VALU_DEP_2)
	v_mul_f64 v[19:20], v[56:57], v[19:20]
	v_fma_f64 v[2:3], v[56:57], v[17:18], v[118:119]
	v_mul_f64 v[118:119], v[252:253], s[24:25]
	v_mul_f64 v[55:56], v[252:253], s[16:17]
	s_delay_alu instid0(VALU_DEP_4)
	v_fma_f64 v[0:1], v[58:59], v[17:18], -v[19:20]
	v_fma_f64 v[16:17], v[124:125], s[52:53], v[222:223]
	v_fma_f64 v[18:19], v[122:123], s[44:45], v[204:205]
	;; [unrolled: 1-line block ×4, first 2 shown]
	v_mul_f64 v[59:60], v[248:249], s[54:55]
	scratch_store_b128 off, v[0:3], off offset:36 ; 16-byte Folded Spill
	v_add_f64 v[16:17], v[35:36], v[16:17]
	s_delay_alu instid0(VALU_DEP_1) | instskip(SKIP_1) | instid1(VALU_DEP_2)
	v_add_f64 v[16:17], v[18:19], v[16:17]
	v_fma_f64 v[18:19], v[126:127], s[14:15], v[202:203]
	v_add_f64 v[16:17], v[142:143], v[16:17]
	s_delay_alu instid0(VALU_DEP_2) | instskip(SKIP_1) | instid1(VALU_DEP_2)
	v_add_f64 v[18:19], v[33:34], v[18:19]
	v_mul_f64 v[142:143], v[254:255], s[40:41]
	v_add_f64 v[18:19], v[57:58], v[18:19]
	s_delay_alu instid0(VALU_DEP_2) | instskip(SKIP_1) | instid1(VALU_DEP_2)
	v_fma_f64 v[136:137], v[132:133], s[24:25], v[142:143]
	v_mul_f64 v[57:58], v[250:251], s[56:57]
	v_add_f64 v[18:19], v[136:137], v[18:19]
	v_mul_f64 v[136:137], v[12:13], s[0:1]
	s_delay_alu instid0(VALU_DEP_1) | instskip(NEXT) | instid1(VALU_DEP_1)
	v_fma_f64 v[120:121], v[134:135], s[10:11], v[136:137]
	v_add_f64 v[16:17], v[120:121], v[16:17]
	v_mul_f64 v[120:121], v[10:11], s[46:47]
	s_delay_alu instid0(VALU_DEP_1) | instskip(NEXT) | instid1(VALU_DEP_1)
	v_fma_f64 v[106:107], v[138:139], s[0:1], v[120:121]
	;; [unrolled: 4-line block ×10, first 2 shown]
	v_add_f64 v[16:17], v[158:159], v[16:17]
	s_delay_alu instid0(VALU_DEP_4) | instskip(NEXT) | instid1(VALU_DEP_2)
	v_mul_f64 v[158:159], v[18:19], v[23:24]
	v_mul_f64 v[23:24], v[16:17], v[23:24]
	s_delay_alu instid0(VALU_DEP_2) | instskip(SKIP_1) | instid1(VALU_DEP_3)
	v_fma_f64 v[2:3], v[16:17], v[21:22], v[158:159]
	v_mul_f64 v[158:159], v[244:245], s[24:25]
	v_fma_f64 v[0:1], v[18:19], v[21:22], -v[23:24]
	v_fma_f64 v[18:19], v[122:123], s[28:29], v[61:62]
	s_delay_alu instid0(VALU_DEP_3)
	v_fma_f64 v[16:17], v[124:125], s[40:41], v[158:159]
	v_fma_f64 v[20:21], v[128:129], s[12:13], v[57:58]
	v_mul_f64 v[24:25], v[4:5], s[36:37]
	v_mul_f64 v[22:23], v[250:251], s[40:41]
	scratch_store_b128 off, v[0:3], off offset:52 ; 16-byte Folded Spill
	v_add_f64 v[16:17], v[35:36], v[16:17]
	v_fma_f64 v[180:181], v[128:129], s[24:25], v[22:23]
	s_delay_alu instid0(VALU_DEP_2) | instskip(SKIP_1) | instid1(VALU_DEP_1)
	v_add_f64 v[16:17], v[18:19], v[16:17]
	v_fma_f64 v[18:19], v[126:127], s[24:25], v[59:60]
	v_add_f64 v[18:19], v[33:34], v[18:19]
	s_delay_alu instid0(VALU_DEP_1) | instskip(SKIP_1) | instid1(VALU_DEP_1)
	v_add_f64 v[18:19], v[20:21], v[18:19]
	v_fma_f64 v[20:21], v[130:131], s[58:59], v[55:56]
	v_add_f64 v[16:17], v[20:21], v[16:17]
	v_fma_f64 v[20:21], v[132:133], s[16:17], v[51:52]
	s_delay_alu instid0(VALU_DEP_2) | instskip(SKIP_1) | instid1(VALU_DEP_3)
	v_add_f64 v[16:17], v[160:161], v[16:17]
	v_mul_f64 v[160:161], v[10:11], s[38:39]
	v_add_f64 v[18:19], v[20:21], v[18:19]
	v_mul_f64 v[20:21], v[244:245], s[12:13]
	s_delay_alu instid0(VALU_DEP_3) | instskip(NEXT) | instid1(VALU_DEP_1)
	v_fma_f64 v[162:163], v[138:139], s[30:31], v[160:161]
	v_add_f64 v[18:19], v[162:163], v[18:19]
	v_fma_f64 v[162:163], v[140:141], s[44:45], v[43:44]
	s_delay_alu instid0(VALU_DEP_1) | instskip(SKIP_1) | instid1(VALU_DEP_1)
	v_add_f64 v[16:17], v[162:163], v[16:17]
	v_fma_f64 v[162:163], v[144:145], s[34:35], v[41:42]
	v_add_f64 v[18:19], v[162:163], v[18:19]
	v_fma_f64 v[162:163], v[146:147], s[26:27], v[39:40]
	s_delay_alu instid0(VALU_DEP_1) | instskip(SKIP_1) | instid1(VALU_DEP_1)
	v_add_f64 v[16:17], v[162:163], v[16:17]
	;; [unrolled: 5-line block ×4, first 2 shown]
	v_fma_f64 v[162:163], v[156:157], s[48:49], v[24:25]
	v_add_f64 v[16:17], v[162:163], v[16:17]
	s_delay_alu instid0(VALU_DEP_3) | instskip(NEXT) | instid1(VALU_DEP_2)
	v_mul_f64 v[162:163], v[18:19], v[47:48]
	v_mul_f64 v[47:48], v[16:17], v[47:48]
	s_delay_alu instid0(VALU_DEP_2) | instskip(SKIP_1) | instid1(VALU_DEP_3)
	v_fma_f64 v[2:3], v[16:17], v[49:50], v[162:163]
	v_mul_f64 v[162:163], v[248:249], s[42:43]
	v_fma_f64 v[0:1], v[18:19], v[49:50], -v[47:48]
	v_mul_f64 v[47:48], v[244:245], s[36:37]
	v_mul_f64 v[49:50], v[246:247], s[24:25]
	scratch_store_b128 off, v[0:3], off offset:84 ; 16-byte Folded Spill
	v_fma_f64 v[16:17], v[124:125], s[48:49], v[47:48]
	v_fma_f64 v[18:19], v[122:123], s[54:55], v[49:50]
	s_delay_alu instid0(VALU_DEP_2) | instskip(NEXT) | instid1(VALU_DEP_1)
	v_add_f64 v[16:17], v[35:36], v[16:17]
	v_add_f64 v[16:17], v[18:19], v[16:17]
	v_fma_f64 v[18:19], v[126:127], s[36:37], v[162:163]
	s_delay_alu instid0(VALU_DEP_1) | instskip(NEXT) | instid1(VALU_DEP_1)
	v_add_f64 v[18:19], v[33:34], v[18:19]
	v_add_f64 v[18:19], v[180:181], v[18:19]
	v_mul_f64 v[180:181], v[252:253], s[0:1]
	s_delay_alu instid0(VALU_DEP_1) | instskip(NEXT) | instid1(VALU_DEP_1)
	v_fma_f64 v[178:179], v[130:131], s[46:47], v[180:181]
	v_add_f64 v[16:17], v[178:179], v[16:17]
	v_mul_f64 v[178:179], v[254:255], s[10:11]
	s_delay_alu instid0(VALU_DEP_1) | instskip(NEXT) | instid1(VALU_DEP_1)
	v_fma_f64 v[184:185], v[132:133], s[0:1], v[178:179]
	;; [unrolled: 4-line block ×12, first 2 shown]
	v_add_f64 v[16:17], v[168:169], v[16:17]
	s_delay_alu instid0(VALU_DEP_4) | instskip(NEXT) | instid1(VALU_DEP_2)
	v_mul_f64 v[168:169], v[18:19], v[238:239]
	v_mul_f64 v[0:1], v[16:17], v[238:239]
	s_delay_alu instid0(VALU_DEP_2) | instskip(SKIP_2) | instid1(VALU_DEP_4)
	v_fma_f64 v[2:3], v[16:17], v[236:237], v[168:169]
	v_fma_f64 v[16:17], v[124:125], s[56:57], v[20:21]
	v_mul_f64 v[168:169], v[246:247], s[30:31]
	v_fma_f64 v[0:1], v[18:19], v[236:237], -v[0:1]
	s_delay_alu instid0(VALU_DEP_3) | instskip(NEXT) | instid1(VALU_DEP_3)
	v_add_f64 v[16:17], v[35:36], v[16:17]
	v_fma_f64 v[18:19], v[122:123], s[38:39], v[168:169]
	scratch_store_b128 off, v[0:3], off offset:100 ; 16-byte Folded Spill
	v_mul_f64 v[2:3], v[250:251], s[60:61]
	v_mul_f64 v[0:1], v[4:5], s[24:25]
	v_add_f64 v[16:17], v[18:19], v[16:17]
	v_fma_f64 v[18:19], v[126:127], s[12:13], v[14:15]
	v_fma_f64 v[14:15], v[126:127], s[12:13], -v[14:15]
	v_fma_f64 v[236:237], v[128:129], s[30:31], v[2:3]
	v_fma_f64 v[2:3], v[128:129], s[30:31], -v[2:3]
	s_delay_alu instid0(VALU_DEP_4) | instskip(NEXT) | instid1(VALU_DEP_4)
	v_add_f64 v[18:19], v[33:34], v[18:19]
	v_add_f64 v[14:15], v[33:34], v[14:15]
	s_delay_alu instid0(VALU_DEP_2) | instskip(SKIP_1) | instid1(VALU_DEP_3)
	v_add_f64 v[18:19], v[236:237], v[18:19]
	v_mul_f64 v[236:237], v[252:253], s[14:15]
	v_add_f64 v[2:3], v[2:3], v[14:15]
	s_delay_alu instid0(VALU_DEP_2) | instskip(SKIP_1) | instid1(VALU_DEP_2)
	v_fma_f64 v[238:239], v[130:131], s[52:53], v[236:237]
	v_fma_f64 v[14:15], v[130:131], s[26:27], v[236:237]
	v_add_f64 v[16:17], v[238:239], v[16:17]
	v_mul_f64 v[238:239], v[254:255], s[26:27]
	s_delay_alu instid0(VALU_DEP_1) | instskip(NEXT) | instid1(VALU_DEP_1)
	v_fma_f64 v[206:207], v[132:133], s[14:15], v[238:239]
	v_add_f64 v[18:19], v[206:207], v[18:19]
	v_mul_f64 v[206:207], v[12:13], s[36:37]
	v_mul_f64 v[12:13], v[12:13], s[16:17]
	s_delay_alu instid0(VALU_DEP_2) | instskip(NEXT) | instid1(VALU_DEP_1)
	v_fma_f64 v[208:209], v[134:135], s[42:43], v[206:207]
	v_add_f64 v[16:17], v[208:209], v[16:17]
	v_mul_f64 v[208:209], v[10:11], s[48:49]
	v_mul_f64 v[10:11], v[10:11], s[18:19]
	s_delay_alu instid0(VALU_DEP_2) | instskip(NEXT) | instid1(VALU_DEP_1)
	;; [unrolled: 5-line block ×6, first 2 shown]
	v_fma_f64 v[164:165], v[148:149], s[34:35], v[216:217]
	v_add_f64 v[18:19], v[164:165], v[18:19]
	v_mul_f64 v[164:165], v[6:7], s[16:17]
	s_delay_alu instid0(VALU_DEP_1) | instskip(NEXT) | instid1(VALU_DEP_1)
	v_fma_f64 v[166:167], v[150:151], s[58:59], v[164:165]
	v_add_f64 v[16:17], v[166:167], v[16:17]
	v_mul_f64 v[166:167], v[68:69], s[18:19]
	v_mul_f64 v[68:69], v[68:69], s[54:55]
	s_delay_alu instid0(VALU_DEP_2) | instskip(NEXT) | instid1(VALU_DEP_1)
	v_fma_f64 v[218:219], v[152:153], s[16:17], v[166:167]
	v_add_f64 v[18:19], v[218:219], v[18:19]
	v_mul_f64 v[218:219], v[172:173], s[54:55]
	v_mul_f64 v[172:173], v[172:173], s[52:53]
	s_delay_alu instid0(VALU_DEP_2) | instskip(NEXT) | instid1(VALU_DEP_1)
	v_fma_f64 v[220:221], v[154:155], s[24:25], v[218:219]
	v_add_f64 v[220:221], v[220:221], v[18:19]
	v_fma_f64 v[18:19], v[156:157], s[40:41], v[0:1]
	v_fma_f64 v[0:1], v[156:157], s[54:55], v[0:1]
	s_delay_alu instid0(VALU_DEP_2) | instskip(NEXT) | instid1(VALU_DEP_4)
	v_add_f64 v[16:17], v[18:19], v[16:17]
	v_mul_f64 v[18:19], v[220:221], v[240:241]
	s_delay_alu instid0(VALU_DEP_2) | instskip(NEXT) | instid1(VALU_DEP_2)
	v_mul_f64 v[240:241], v[16:17], v[240:241]
	v_fma_f64 v[18:19], v[16:17], v[242:243], v[18:19]
	s_delay_alu instid0(VALU_DEP_2) | instskip(SKIP_3) | instid1(VALU_DEP_3)
	v_fma_f64 v[16:17], v[220:221], v[242:243], -v[240:241]
	v_mul_f64 v[220:221], v[244:245], s[34:35]
	v_mul_f64 v[240:241], v[246:247], s[0:1]
	;; [unrolled: 1-line block ×3, first 2 shown]
	v_fma_f64 v[242:243], v[124:125], s[44:45], v[220:221]
	s_delay_alu instid0(VALU_DEP_3) | instskip(NEXT) | instid1(VALU_DEP_3)
	v_fma_f64 v[244:245], v[122:123], s[10:11], v[240:241]
	v_fma_f64 v[250:251], v[128:129], s[0:1], v[246:247]
	s_delay_alu instid0(VALU_DEP_3) | instskip(NEXT) | instid1(VALU_DEP_1)
	v_add_f64 v[242:243], v[35:36], v[242:243]
	v_add_f64 v[242:243], v[244:245], v[242:243]
	v_mul_f64 v[244:245], v[248:249], s[50:51]
	s_delay_alu instid0(VALU_DEP_1) | instskip(NEXT) | instid1(VALU_DEP_1)
	v_fma_f64 v[248:249], v[126:127], s[34:35], v[244:245]
	v_add_f64 v[248:249], v[33:34], v[248:249]
	s_delay_alu instid0(VALU_DEP_1) | instskip(SKIP_1) | instid1(VALU_DEP_1)
	v_add_f64 v[248:249], v[250:251], v[248:249]
	v_mul_f64 v[250:251], v[252:253], s[12:13]
	v_fma_f64 v[252:253], v[130:131], s[56:57], v[250:251]
	s_delay_alu instid0(VALU_DEP_1) | instskip(SKIP_1) | instid1(VALU_DEP_1)
	v_add_f64 v[242:243], v[252:253], v[242:243]
	v_mul_f64 v[252:253], v[254:255], s[28:29]
	v_fma_f64 v[254:255], v[132:133], s[12:13], v[252:253]
	s_delay_alu instid0(VALU_DEP_1) | instskip(SKIP_2) | instid1(VALU_DEP_2)
	v_add_f64 v[248:249], v[254:255], v[248:249]
	v_fma_f64 v[254:255], v[134:135], s[58:59], v[12:13]
	v_fma_f64 v[12:13], v[134:135], s[18:19], v[12:13]
	v_add_f64 v[242:243], v[254:255], v[242:243]
	v_fma_f64 v[254:255], v[138:139], s[16:17], v[10:11]
	v_fma_f64 v[10:11], v[138:139], s[16:17], -v[10:11]
	s_delay_alu instid0(VALU_DEP_2) | instskip(SKIP_1) | instid1(VALU_DEP_1)
	v_add_f64 v[248:249], v[254:255], v[248:249]
	v_fma_f64 v[254:255], v[140:141], s[48:49], v[234:235]
	v_add_f64 v[242:243], v[254:255], v[242:243]
	v_fma_f64 v[254:255], v[144:145], s[36:37], v[53:54]
	v_fma_f64 v[53:54], v[144:145], s[36:37], -v[53:54]
	s_delay_alu instid0(VALU_DEP_2) | instskip(SKIP_2) | instid1(VALU_DEP_2)
	v_add_f64 v[248:249], v[254:255], v[248:249]
	v_fma_f64 v[254:255], v[146:147], s[38:39], v[8:9]
	v_fma_f64 v[8:9], v[146:147], s[60:61], v[8:9]
	v_add_f64 v[242:243], v[254:255], v[242:243]
	v_fma_f64 v[254:255], v[148:149], s[30:31], v[170:171]
	s_delay_alu instid0(VALU_DEP_1) | instskip(SKIP_1) | instid1(VALU_DEP_1)
	v_add_f64 v[248:249], v[254:255], v[248:249]
	v_mul_f64 v[254:255], v[6:7], s[24:25]
	v_fma_f64 v[6:7], v[150:151], s[40:41], v[254:255]
	s_delay_alu instid0(VALU_DEP_1) | instskip(SKIP_1) | instid1(VALU_DEP_1)
	v_add_f64 v[6:7], v[6:7], v[242:243]
	v_fma_f64 v[242:243], v[152:153], s[24:25], v[68:69]
	v_add_f64 v[242:243], v[242:243], v[248:249]
	v_fma_f64 v[248:249], v[154:155], s[14:15], v[172:173]
	s_delay_alu instid0(VALU_DEP_1) | instskip(SKIP_1) | instid1(VALU_DEP_1)
	v_add_f64 v[242:243], v[248:249], v[242:243]
	v_mul_f64 v[248:249], v[4:5], s[14:15]
	v_fma_f64 v[4:5], v[156:157], s[26:27], v[248:249]
	s_delay_alu instid0(VALU_DEP_1) | instskip(NEXT) | instid1(VALU_DEP_4)
	v_add_f64 v[4:5], v[4:5], v[6:7]
	v_mul_f64 v[6:7], v[242:243], v[86:87]
	s_delay_alu instid0(VALU_DEP_2) | instskip(NEXT) | instid1(VALU_DEP_2)
	v_mul_f64 v[86:87], v[4:5], v[86:87]
	v_fma_f64 v[6:7], v[4:5], v[88:89], v[6:7]
	s_delay_alu instid0(VALU_DEP_2) | instskip(SKIP_3) | instid1(VALU_DEP_3)
	v_fma_f64 v[4:5], v[242:243], v[88:89], -v[86:87]
	v_fma_f64 v[86:87], v[124:125], s[50:51], v[220:221]
	v_fma_f64 v[88:89], v[122:123], s[46:47], v[240:241]
	v_fma_f64 v[220:221], v[128:129], s[0:1], -v[246:247]
	v_add_f64 v[86:87], v[35:36], v[86:87]
	s_delay_alu instid0(VALU_DEP_1) | instskip(SKIP_1) | instid1(VALU_DEP_1)
	v_add_f64 v[86:87], v[88:89], v[86:87]
	v_fma_f64 v[88:89], v[126:127], s[34:35], -v[244:245]
	v_add_f64 v[88:89], v[33:34], v[88:89]
	s_delay_alu instid0(VALU_DEP_1) | instskip(SKIP_1) | instid1(VALU_DEP_1)
	v_add_f64 v[88:89], v[220:221], v[88:89]
	v_fma_f64 v[220:221], v[130:131], s[28:29], v[250:251]
	v_add_f64 v[86:87], v[220:221], v[86:87]
	v_fma_f64 v[220:221], v[132:133], s[12:13], -v[252:253]
	s_delay_alu instid0(VALU_DEP_2) | instskip(NEXT) | instid1(VALU_DEP_2)
	v_add_f64 v[12:13], v[12:13], v[86:87]
	v_add_f64 v[88:89], v[220:221], v[88:89]
	v_fma_f64 v[86:87], v[140:141], s[42:43], v[234:235]
	s_delay_alu instid0(VALU_DEP_2) | instskip(NEXT) | instid1(VALU_DEP_2)
	v_add_f64 v[10:11], v[10:11], v[88:89]
	v_add_f64 v[12:13], v[86:87], v[12:13]
	s_delay_alu instid0(VALU_DEP_2) | instskip(NEXT) | instid1(VALU_DEP_2)
	v_add_f64 v[10:11], v[53:54], v[10:11]
	v_add_f64 v[8:9], v[8:9], v[12:13]
	v_fma_f64 v[12:13], v[148:149], s[30:31], -v[170:171]
	scratch_load_b64 v[53:54], off, off offset:684 ; 8-byte Folded Reload
	v_add_f64 v[10:11], v[12:13], v[10:11]
	v_fma_f64 v[12:13], v[150:151], s[54:55], v[254:255]
	s_delay_alu instid0(VALU_DEP_1) | instskip(SKIP_4) | instid1(VALU_DEP_1)
	v_add_f64 v[8:9], v[12:13], v[8:9]
	v_fma_f64 v[12:13], v[152:153], s[24:25], -v[68:69]
	scratch_load_b64 v[68:69], off, off offset:676 ; 8-byte Folded Reload
	v_add_f64 v[10:11], v[12:13], v[10:11]
	v_fma_f64 v[12:13], v[154:155], s[14:15], -v[172:173]
	v_add_f64 v[12:13], v[12:13], v[10:11]
	v_fma_f64 v[10:11], v[156:157], s[52:53], v[248:249]
	s_delay_alu instid0(VALU_DEP_1) | instskip(SKIP_1) | instid1(VALU_DEP_3)
	v_add_f64 v[8:9], v[10:11], v[8:9]
	s_waitcnt vmcnt(1)
	v_mul_f64 v[10:11], v[12:13], v[53:54]
	s_delay_alu instid0(VALU_DEP_2) | instskip(SKIP_1) | instid1(VALU_DEP_2)
	v_mul_f64 v[53:54], v[8:9], v[53:54]
	s_waitcnt vmcnt(0)
	v_fma_f64 v[10:11], v[8:9], v[68:69], v[10:11]
	s_delay_alu instid0(VALU_DEP_2) | instskip(SKIP_2) | instid1(VALU_DEP_2)
	v_fma_f64 v[8:9], v[12:13], v[68:69], -v[53:54]
	v_fma_f64 v[12:13], v[124:125], s[28:29], v[20:21]
	v_fma_f64 v[20:21], v[122:123], s[60:61], v[168:169]
	v_add_f64 v[12:13], v[35:36], v[12:13]
	s_delay_alu instid0(VALU_DEP_1) | instskip(SKIP_3) | instid1(VALU_DEP_1)
	v_add_f64 v[12:13], v[20:21], v[12:13]
	scratch_load_b64 v[20:21], off, off offset:596 ; 8-byte Folded Reload
	v_add_f64 v[12:13], v[14:15], v[12:13]
	v_fma_f64 v[14:15], v[132:133], s[14:15], -v[238:239]
	v_add_f64 v[2:3], v[14:15], v[2:3]
	v_fma_f64 v[14:15], v[134:135], s[48:49], v[206:207]
	s_delay_alu instid0(VALU_DEP_1) | instskip(SKIP_1) | instid1(VALU_DEP_1)
	v_add_f64 v[12:13], v[14:15], v[12:13]
	v_fma_f64 v[14:15], v[138:139], s[36:37], -v[208:209]
	v_add_f64 v[2:3], v[14:15], v[2:3]
	v_fma_f64 v[14:15], v[140:141], s[10:11], v[210:211]
	s_delay_alu instid0(VALU_DEP_1) | instskip(SKIP_1) | instid1(VALU_DEP_1)
	;; [unrolled: 5-line block ×3, first 2 shown]
	v_add_f64 v[12:13], v[14:15], v[12:13]
	v_fma_f64 v[14:15], v[148:149], s[34:35], -v[216:217]
	v_add_f64 v[2:3], v[14:15], v[2:3]
	v_fma_f64 v[14:15], v[150:151], s[18:19], v[164:165]
	s_delay_alu instid0(VALU_DEP_1) | instskip(SKIP_1) | instid1(VALU_DEP_2)
	v_add_f64 v[12:13], v[14:15], v[12:13]
	v_fma_f64 v[14:15], v[152:153], s[16:17], -v[166:167]
	v_add_f64 v[0:1], v[0:1], v[12:13]
	s_delay_alu instid0(VALU_DEP_2) | instskip(SKIP_1) | instid1(VALU_DEP_1)
	v_add_f64 v[2:3], v[14:15], v[2:3]
	v_fma_f64 v[14:15], v[154:155], s[24:25], -v[218:219]
	v_add_f64 v[2:3], v[14:15], v[2:3]
	scratch_load_b64 v[14:15], off, off offset:604 ; 8-byte Folded Reload
	s_waitcnt vmcnt(0)
	v_mul_f64 v[12:13], v[2:3], v[14:15]
	v_mul_f64 v[14:15], v[0:1], v[14:15]
	s_delay_alu instid0(VALU_DEP_2) | instskip(SKIP_1) | instid1(VALU_DEP_3)
	v_fma_f64 v[88:89], v[0:1], v[20:21], v[12:13]
	v_fma_f64 v[0:1], v[124:125], s[42:43], v[47:48]
	v_fma_f64 v[86:87], v[2:3], v[20:21], -v[14:15]
	v_fma_f64 v[2:3], v[122:123], s[40:41], v[49:50]
	v_fma_f64 v[12:13], v[128:129], s[24:25], -v[22:23]
	s_clause 0x2
	scratch_load_b64 v[14:15], off, off offset:580
	scratch_load_b64 v[20:21], off, off offset:572
	;; [unrolled: 1-line block ×3, first 2 shown]
	v_add_f64 v[0:1], v[35:36], v[0:1]
	s_delay_alu instid0(VALU_DEP_1) | instskip(SKIP_1) | instid1(VALU_DEP_1)
	v_add_f64 v[0:1], v[2:3], v[0:1]
	v_fma_f64 v[2:3], v[126:127], s[36:37], -v[162:163]
	v_add_f64 v[2:3], v[33:34], v[2:3]
	s_delay_alu instid0(VALU_DEP_1) | instskip(SKIP_1) | instid1(VALU_DEP_1)
	v_add_f64 v[2:3], v[12:13], v[2:3]
	v_fma_f64 v[12:13], v[130:131], s[10:11], v[180:181]
	v_add_f64 v[0:1], v[12:13], v[0:1]
	v_fma_f64 v[12:13], v[132:133], s[0:1], -v[178:179]
	s_delay_alu instid0(VALU_DEP_1) | instskip(SKIP_1) | instid1(VALU_DEP_1)
	v_add_f64 v[2:3], v[12:13], v[2:3]
	v_fma_f64 v[12:13], v[134:135], s[28:29], v[184:185]
	v_add_f64 v[0:1], v[12:13], v[0:1]
	v_fma_f64 v[12:13], v[138:139], s[12:13], -v[188:189]
	s_delay_alu instid0(VALU_DEP_1) | instskip(SKIP_3) | instid1(VALU_DEP_2)
	v_add_f64 v[2:3], v[12:13], v[2:3]
	v_fma_f64 v[12:13], v[140:141], s[52:53], v[190:191]
	s_waitcnt vmcnt(0)
	v_fma_f64 v[22:23], v[132:133], s[34:35], -v[22:23]
	v_add_f64 v[0:1], v[12:13], v[0:1]
	v_fma_f64 v[12:13], v[144:145], s[14:15], -v[192:193]
	s_delay_alu instid0(VALU_DEP_1) | instskip(SKIP_1) | instid1(VALU_DEP_1)
	v_add_f64 v[2:3], v[12:13], v[2:3]
	v_fma_f64 v[12:13], v[146:147], s[58:59], v[194:195]
	v_add_f64 v[0:1], v[12:13], v[0:1]
	v_fma_f64 v[12:13], v[148:149], s[16:17], -v[196:197]
	s_delay_alu instid0(VALU_DEP_1) | instskip(SKIP_1) | instid1(VALU_DEP_1)
	v_add_f64 v[2:3], v[12:13], v[2:3]
	v_fma_f64 v[12:13], v[150:151], s[50:51], v[182:183]
	v_add_f64 v[0:1], v[12:13], v[0:1]
	v_fma_f64 v[12:13], v[152:153], s[34:35], -v[186:187]
	s_delay_alu instid0(VALU_DEP_1) | instskip(SKIP_1) | instid1(VALU_DEP_1)
	v_add_f64 v[2:3], v[12:13], v[2:3]
	v_fma_f64 v[12:13], v[154:155], s[30:31], -v[198:199]
	v_add_f64 v[2:3], v[12:13], v[2:3]
	v_fma_f64 v[12:13], v[156:157], s[60:61], v[200:201]
	s_delay_alu instid0(VALU_DEP_1) | instskip(NEXT) | instid1(VALU_DEP_3)
	v_add_f64 v[0:1], v[12:13], v[0:1]
	v_mul_f64 v[12:13], v[2:3], v[14:15]
	s_delay_alu instid0(VALU_DEP_2) | instskip(NEXT) | instid1(VALU_DEP_2)
	v_mul_f64 v[14:15], v[0:1], v[14:15]
	v_fma_f64 v[172:173], v[0:1], v[20:21], v[12:13]
	v_fma_f64 v[0:1], v[124:125], s[58:59], v[116:117]
	v_fma_f64 v[12:13], v[128:129], s[14:15], -v[110:111]
	s_delay_alu instid0(VALU_DEP_4) | instskip(SKIP_1) | instid1(VALU_DEP_4)
	v_fma_f64 v[170:171], v[2:3], v[20:21], -v[14:15]
	v_fma_f64 v[2:3], v[122:123], s[26:27], v[112:113]
	v_add_f64 v[0:1], v[35:36], v[0:1]
	s_clause 0x1
	scratch_load_b64 v[14:15], off, off offset:444
	scratch_load_b64 v[20:21], off, off offset:436
	v_add_f64 v[0:1], v[2:3], v[0:1]
	v_fma_f64 v[2:3], v[126:127], s[16:17], -v[114:115]
	s_delay_alu instid0(VALU_DEP_1) | instskip(NEXT) | instid1(VALU_DEP_1)
	v_add_f64 v[2:3], v[33:34], v[2:3]
	v_add_f64 v[2:3], v[12:13], v[2:3]
	v_fma_f64 v[12:13], v[130:131], s[42:43], v[84:85]
	s_delay_alu instid0(VALU_DEP_1) | instskip(SKIP_1) | instid1(VALU_DEP_1)
	v_add_f64 v[0:1], v[12:13], v[0:1]
	v_fma_f64 v[12:13], v[132:133], s[36:37], -v[82:83]
	v_add_f64 v[2:3], v[12:13], v[2:3]
	v_fma_f64 v[12:13], v[134:135], s[50:51], v[108:109]
	s_delay_alu instid0(VALU_DEP_1) | instskip(SKIP_1) | instid1(VALU_DEP_1)
	v_add_f64 v[0:1], v[12:13], v[0:1]
	v_fma_f64 v[12:13], v[138:139], s[34:35], -v[80:81]
	;; [unrolled: 5-line block ×5, first 2 shown]
	v_add_f64 v[2:3], v[12:13], v[2:3]
	v_fma_f64 v[12:13], v[154:155], s[0:1], -v[66:67]
	s_delay_alu instid0(VALU_DEP_1) | instskip(SKIP_1) | instid1(VALU_DEP_1)
	v_add_f64 v[2:3], v[12:13], v[2:3]
	v_fma_f64 v[12:13], v[156:157], s[46:47], v[64:65]
	v_add_f64 v[0:1], v[12:13], v[0:1]
	s_waitcnt vmcnt(1)
	s_delay_alu instid0(VALU_DEP_3) | instskip(NEXT) | instid1(VALU_DEP_2)
	v_mul_f64 v[12:13], v[14:15], v[2:3]
	v_mul_f64 v[14:15], v[14:15], v[0:1]
	s_waitcnt vmcnt(0)
	s_delay_alu instid0(VALU_DEP_2)
	v_fma_f64 v[168:169], v[20:21], v[0:1], v[12:13]
	s_clause 0x1
	scratch_load_b64 v[0:1], off, off offset:612
	scratch_load_b64 v[12:13], off, off offset:636
	v_fma_f64 v[166:167], v[20:21], v[2:3], -v[14:15]
	s_clause 0x2
	scratch_load_b64 v[2:3], off, off offset:620
	scratch_load_b64 v[14:15], off, off offset:428
	;; [unrolled: 1-line block ×3, first 2 shown]
	s_waitcnt vmcnt(4)
	v_fma_f64 v[0:1], v[124:125], s[10:11], v[0:1]
	s_waitcnt vmcnt(3)
	v_fma_f64 v[12:13], v[128:129], s[16:17], -v[12:13]
	s_waitcnt vmcnt(2)
	v_fma_f64 v[2:3], v[122:123], s[58:59], v[2:3]
	s_delay_alu instid0(VALU_DEP_3) | instskip(NEXT) | instid1(VALU_DEP_1)
	v_add_f64 v[0:1], v[35:36], v[0:1]
	v_add_f64 v[0:1], v[2:3], v[0:1]
	scratch_load_b64 v[2:3], off, off offset:628 ; 8-byte Folded Reload
	s_waitcnt vmcnt(0)
	v_fma_f64 v[2:3], v[126:127], s[0:1], -v[2:3]
	s_delay_alu instid0(VALU_DEP_1) | instskip(NEXT) | instid1(VALU_DEP_1)
	v_add_f64 v[2:3], v[33:34], v[2:3]
	v_add_f64 v[2:3], v[12:13], v[2:3]
	scratch_load_b64 v[12:13], off, off offset:644 ; 8-byte Folded Reload
	s_waitcnt vmcnt(0)
	v_fma_f64 v[12:13], v[130:131], s[38:39], v[12:13]
	s_delay_alu instid0(VALU_DEP_1) | instskip(SKIP_3) | instid1(VALU_DEP_1)
	v_add_f64 v[0:1], v[12:13], v[0:1]
	scratch_load_b64 v[12:13], off, off offset:652 ; 8-byte Folded Reload
	s_waitcnt vmcnt(0)
	v_fma_f64 v[12:13], v[132:133], s[30:31], -v[12:13]
	v_add_f64 v[2:3], v[12:13], v[2:3]
	scratch_load_b64 v[12:13], off, off offset:660 ; 8-byte Folded Reload
	s_waitcnt vmcnt(0)
	v_fma_f64 v[12:13], v[134:135], s[26:27], v[12:13]
	s_delay_alu instid0(VALU_DEP_1) | instskip(SKIP_3) | instid1(VALU_DEP_1)
	v_add_f64 v[0:1], v[12:13], v[0:1]
	scratch_load_b64 v[12:13], off, off offset:668 ; 8-byte Folded Reload
	s_waitcnt vmcnt(0)
	v_fma_f64 v[12:13], v[138:139], s[14:15], -v[12:13]
	;; [unrolled: 9-line block ×3, first 2 shown]
	v_add_f64 v[2:3], v[12:13], v[2:3]
	scratch_load_b64 v[12:13], off, off offset:708 ; 8-byte Folded Reload
	s_waitcnt vmcnt(0)
	v_fma_f64 v[12:13], v[146:147], s[42:43], v[12:13]
	s_delay_alu instid0(VALU_DEP_1) | instskip(SKIP_1) | instid1(VALU_DEP_1)
	v_add_f64 v[0:1], v[12:13], v[0:1]
	v_fma_f64 v[12:13], v[148:149], s[36:37], -v[224:225]
	v_add_f64 v[2:3], v[12:13], v[2:3]
	v_fma_f64 v[12:13], v[150:151], s[28:29], v[226:227]
	s_delay_alu instid0(VALU_DEP_1) | instskip(SKIP_1) | instid1(VALU_DEP_1)
	v_add_f64 v[0:1], v[12:13], v[0:1]
	v_fma_f64 v[12:13], v[152:153], s[12:13], -v[228:229]
	v_add_f64 v[2:3], v[12:13], v[2:3]
	v_fma_f64 v[12:13], v[154:155], s[34:35], -v[230:231]
	s_delay_alu instid0(VALU_DEP_1) | instskip(SKIP_1) | instid1(VALU_DEP_1)
	v_add_f64 v[2:3], v[12:13], v[2:3]
	v_fma_f64 v[12:13], v[156:157], s[50:51], v[232:233]
	v_add_f64 v[0:1], v[12:13], v[0:1]
	s_delay_alu instid0(VALU_DEP_3) | instskip(NEXT) | instid1(VALU_DEP_2)
	v_mul_f64 v[12:13], v[14:15], v[2:3]
	v_mul_f64 v[14:15], v[14:15], v[0:1]
	s_delay_alu instid0(VALU_DEP_2) | instskip(SKIP_2) | instid1(VALU_DEP_4)
	v_fma_f64 v[164:165], v[20:21], v[0:1], v[12:13]
	v_fma_f64 v[0:1], v[124:125], s[54:55], v[158:159]
	v_fma_f64 v[12:13], v[128:129], s[12:13], -v[57:58]
	v_fma_f64 v[162:163], v[20:21], v[2:3], -v[14:15]
	v_fma_f64 v[2:3], v[122:123], s[56:57], v[61:62]
	s_delay_alu instid0(VALU_DEP_4)
	v_add_f64 v[0:1], v[35:36], v[0:1]
	s_clause 0x1
	scratch_load_b64 v[14:15], off, off offset:308
	scratch_load_b64 v[20:21], off, off offset:244
	v_add_f64 v[0:1], v[2:3], v[0:1]
	v_fma_f64 v[2:3], v[126:127], s[24:25], -v[59:60]
	s_delay_alu instid0(VALU_DEP_1) | instskip(NEXT) | instid1(VALU_DEP_1)
	v_add_f64 v[2:3], v[33:34], v[2:3]
	v_add_f64 v[2:3], v[12:13], v[2:3]
	v_fma_f64 v[12:13], v[130:131], s[18:19], v[55:56]
	s_delay_alu instid0(VALU_DEP_1) | instskip(SKIP_1) | instid1(VALU_DEP_1)
	v_add_f64 v[0:1], v[12:13], v[0:1]
	v_fma_f64 v[12:13], v[132:133], s[16:17], -v[51:52]
	v_add_f64 v[2:3], v[12:13], v[2:3]
	v_fma_f64 v[12:13], v[134:135], s[38:39], v[45:46]
	s_delay_alu instid0(VALU_DEP_1) | instskip(SKIP_1) | instid1(VALU_DEP_1)
	v_add_f64 v[0:1], v[12:13], v[0:1]
	v_fma_f64 v[12:13], v[138:139], s[30:31], -v[160:161]
	v_add_f64 v[2:3], v[12:13], v[2:3]
	v_fma_f64 v[12:13], v[140:141], s[50:51], v[43:44]
	s_delay_alu instid0(VALU_DEP_1) | instskip(SKIP_1) | instid1(VALU_DEP_1)
	v_add_f64 v[0:1], v[12:13], v[0:1]
	v_fma_f64 v[12:13], v[144:145], s[34:35], -v[41:42]
	v_add_f64 v[2:3], v[12:13], v[2:3]
	v_fma_f64 v[12:13], v[146:147], s[52:53], v[39:40]
	s_delay_alu instid0(VALU_DEP_1) | instskip(SKIP_1) | instid1(VALU_DEP_1)
	v_add_f64 v[0:1], v[12:13], v[0:1]
	v_fma_f64 v[12:13], v[148:149], s[14:15], -v[37:38]
	v_add_f64 v[2:3], v[12:13], v[2:3]
	v_fma_f64 v[12:13], v[150:151], s[10:11], v[30:31]
	s_delay_alu instid0(VALU_DEP_1) | instskip(SKIP_1) | instid1(VALU_DEP_1)
	v_add_f64 v[0:1], v[12:13], v[0:1]
	v_fma_f64 v[12:13], v[152:153], s[0:1], -v[28:29]
	v_add_f64 v[2:3], v[12:13], v[2:3]
	v_fma_f64 v[12:13], v[154:155], s[36:37], -v[26:27]
	s_delay_alu instid0(VALU_DEP_1) | instskip(SKIP_1) | instid1(VALU_DEP_1)
	v_add_f64 v[2:3], v[12:13], v[2:3]
	v_fma_f64 v[12:13], v[156:157], s[42:43], v[24:25]
	v_add_f64 v[0:1], v[12:13], v[0:1]
	s_waitcnt vmcnt(1)
	s_delay_alu instid0(VALU_DEP_3) | instskip(NEXT) | instid1(VALU_DEP_2)
	v_mul_f64 v[12:13], v[2:3], v[14:15]
	v_mul_f64 v[14:15], v[0:1], v[14:15]
	s_waitcnt vmcnt(0)
	s_delay_alu instid0(VALU_DEP_2) | instskip(SKIP_2) | instid1(VALU_DEP_4)
	v_fma_f64 v[160:161], v[0:1], v[20:21], v[12:13]
	v_fma_f64 v[0:1], v[124:125], s[26:27], v[222:223]
	v_fma_f64 v[12:13], v[128:129], s[34:35], -v[176:177]
	v_fma_f64 v[158:159], v[2:3], v[20:21], -v[14:15]
	v_fma_f64 v[2:3], v[122:123], s[50:51], v[204:205]
	s_delay_alu instid0(VALU_DEP_4)
	v_add_f64 v[0:1], v[35:36], v[0:1]
	s_clause 0x1
	scratch_load_b64 v[14:15], off, off offset:172
	scratch_load_b64 v[20:21], off, off offset:164
	v_add_f64 v[0:1], v[2:3], v[0:1]
	v_fma_f64 v[2:3], v[126:127], s[14:15], -v[202:203]
	s_delay_alu instid0(VALU_DEP_1) | instskip(NEXT) | instid1(VALU_DEP_1)
	v_add_f64 v[2:3], v[33:34], v[2:3]
	v_add_f64 v[2:3], v[12:13], v[2:3]
	v_fma_f64 v[12:13], v[130:131], s[40:41], v[118:119]
	s_delay_alu instid0(VALU_DEP_1) | instskip(SKIP_1) | instid1(VALU_DEP_1)
	v_add_f64 v[0:1], v[12:13], v[0:1]
	v_fma_f64 v[12:13], v[132:133], s[24:25], -v[142:143]
	v_add_f64 v[2:3], v[12:13], v[2:3]
	v_fma_f64 v[12:13], v[134:135], s[46:47], v[136:137]
	s_delay_alu instid0(VALU_DEP_1) | instskip(SKIP_1) | instid1(VALU_DEP_1)
	v_add_f64 v[0:1], v[12:13], v[0:1]
	v_fma_f64 v[12:13], v[138:139], s[0:1], -v[120:121]
	;; [unrolled: 5-line block ×5, first 2 shown]
	v_add_f64 v[2:3], v[12:13], v[2:3]
	v_fma_f64 v[12:13], v[154:155], s[16:17], -v[101:102]
	s_delay_alu instid0(VALU_DEP_1) | instskip(SKIP_1) | instid1(VALU_DEP_1)
	v_add_f64 v[2:3], v[12:13], v[2:3]
	v_fma_f64 v[12:13], v[156:157], s[18:19], v[103:104]
	v_add_f64 v[0:1], v[12:13], v[0:1]
	s_waitcnt vmcnt(1)
	s_delay_alu instid0(VALU_DEP_3) | instskip(NEXT) | instid1(VALU_DEP_2)
	v_mul_f64 v[12:13], v[2:3], v[14:15]
	v_mul_f64 v[14:15], v[0:1], v[14:15]
	s_waitcnt vmcnt(0)
	s_delay_alu instid0(VALU_DEP_2)
	v_fma_f64 v[204:205], v[0:1], v[20:21], v[12:13]
	s_clause 0x1
	scratch_load_b64 v[0:1], off, off offset:212
	scratch_load_b64 v[12:13], off, off offset:228
	v_fma_f64 v[202:203], v[2:3], v[20:21], -v[14:15]
	s_clause 0x2
	scratch_load_b64 v[2:3], off, off offset:236
	scratch_load_b64 v[14:15], off, off offset:76
	;; [unrolled: 1-line block ×3, first 2 shown]
	s_waitcnt vmcnt(4)
	v_add_f64 v[0:1], v[33:34], v[0:1]
	s_waitcnt vmcnt(2)
	s_delay_alu instid0(VALU_DEP_1) | instskip(SKIP_3) | instid1(VALU_DEP_1)
	v_add_f64 v[0:1], v[0:1], v[2:3]
	scratch_load_b64 v[2:3], off, off offset:196 ; 8-byte Folded Reload
	s_waitcnt vmcnt(0)
	v_add_f64 v[2:3], v[35:36], v[2:3]
	v_add_f64 v[2:3], v[2:3], v[12:13]
	scratch_load_b64 v[12:13], off, off offset:260 ; 8-byte Folded Reload
	s_waitcnt vmcnt(0)
	v_add_f64 v[0:1], v[0:1], v[12:13]
	scratch_load_b64 v[12:13], off, off offset:252 ; 8-byte Folded Reload
	s_waitcnt vmcnt(0)
	v_add_f64 v[2:3], v[2:3], v[12:13]
	scratch_load_b64 v[12:13], off, off offset:292 ; 8-byte Folded Reload
	s_waitcnt vmcnt(0)
	v_add_f64 v[0:1], v[0:1], v[12:13]
	scratch_load_b64 v[12:13], off, off offset:284 ; 8-byte Folded Reload
	s_waitcnt vmcnt(0)
	v_add_f64 v[2:3], v[2:3], v[12:13]
	scratch_load_b64 v[12:13], off, off offset:332 ; 8-byte Folded Reload
	s_waitcnt vmcnt(0)
	v_add_f64 v[0:1], v[0:1], v[12:13]
	scratch_load_b64 v[12:13], off, off offset:316 ; 8-byte Folded Reload
	s_waitcnt vmcnt(0)
	v_add_f64 v[2:3], v[2:3], v[12:13]
	scratch_load_b64 v[12:13], off, off offset:348 ; 8-byte Folded Reload
	s_waitcnt vmcnt(0)
	v_add_f64 v[0:1], v[0:1], v[12:13]
	scratch_load_b64 v[12:13], off, off offset:340 ; 8-byte Folded Reload
	s_waitcnt vmcnt(0)
	v_add_f64 v[2:3], v[2:3], v[12:13]
	scratch_load_b64 v[12:13], off, off offset:380 ; 8-byte Folded Reload
	s_waitcnt vmcnt(0)
	v_add_f64 v[0:1], v[0:1], v[12:13]
	scratch_load_b64 v[12:13], off, off offset:372 ; 8-byte Folded Reload
	s_waitcnt vmcnt(0)
	v_add_f64 v[2:3], v[2:3], v[12:13]
	scratch_load_b64 v[12:13], off, off offset:412 ; 8-byte Folded Reload
	s_waitcnt vmcnt(0)
	v_add_f64 v[0:1], v[0:1], v[12:13]
	scratch_load_b64 v[12:13], off, off offset:404 ; 8-byte Folded Reload
	s_waitcnt vmcnt(0)
	v_add_f64 v[2:3], v[2:3], v[12:13]
	scratch_load_b64 v[12:13], off, off offset:396 ; 8-byte Folded Reload
	s_waitcnt vmcnt(0)
	v_add_f64 v[0:1], v[0:1], v[12:13]
	scratch_load_b64 v[12:13], off, off offset:388 ; 8-byte Folded Reload
	s_waitcnt vmcnt(0)
	v_add_f64 v[2:3], v[2:3], v[12:13]
	scratch_load_b64 v[12:13], off, off offset:364 ; 8-byte Folded Reload
	s_waitcnt vmcnt(0)
	v_add_f64 v[0:1], v[0:1], v[12:13]
	scratch_load_b64 v[12:13], off, off offset:356 ; 8-byte Folded Reload
	s_waitcnt vmcnt(0)
	v_add_f64 v[2:3], v[2:3], v[12:13]
	scratch_load_b64 v[12:13], off, off offset:324 ; 8-byte Folded Reload
	s_waitcnt vmcnt(0)
	v_add_f64 v[0:1], v[0:1], v[12:13]
	scratch_load_b64 v[12:13], off, off offset:300 ; 8-byte Folded Reload
	s_waitcnt vmcnt(0)
	v_add_f64 v[2:3], v[2:3], v[12:13]
	scratch_load_b64 v[12:13], off, off offset:276 ; 8-byte Folded Reload
	s_waitcnt vmcnt(0)
	v_add_f64 v[0:1], v[0:1], v[12:13]
	scratch_load_b64 v[12:13], off, off offset:268 ; 8-byte Folded Reload
	s_waitcnt vmcnt(0)
	v_add_f64 v[2:3], v[2:3], v[12:13]
	scratch_load_b64 v[12:13], off, off offset:220 ; 8-byte Folded Reload
	s_waitcnt vmcnt(0)
	v_add_f64 v[0:1], v[0:1], v[12:13]
	scratch_load_b64 v[12:13], off, off offset:204 ; 8-byte Folded Reload
	s_waitcnt vmcnt(0)
	v_add_f64 v[2:3], v[2:3], v[12:13]
	scratch_load_b64 v[12:13], off, off offset:188 ; 8-byte Folded Reload
	s_waitcnt vmcnt(0)
	v_add_f64 v[0:1], v[0:1], v[12:13]
	scratch_load_b64 v[12:13], off, off offset:180 ; 8-byte Folded Reload
	s_waitcnt vmcnt(0)
	v_add_f64 v[2:3], v[2:3], v[12:13]
	scratch_load_b64 v[12:13], off, off offset:156 ; 8-byte Folded Reload
	s_waitcnt vmcnt(0)
	v_add_f64 v[0:1], v[0:1], v[12:13]
	scratch_load_b64 v[12:13], off, off offset:148 ; 8-byte Folded Reload
	s_waitcnt vmcnt(0)
	v_add_f64 v[2:3], v[2:3], v[12:13]
	scratch_load_b64 v[12:13], off, off offset:140 ; 8-byte Folded Reload
	s_waitcnt vmcnt(0)
	v_add_f64 v[0:1], v[0:1], v[12:13]
	scratch_load_b64 v[12:13], off, off offset:132 ; 8-byte Folded Reload
	s_waitcnt vmcnt(0)
	v_add_f64 v[2:3], v[2:3], v[12:13]
	v_mul_f64 v[12:13], v[0:1], v[14:15]
	s_delay_alu instid0(VALU_DEP_2) | instskip(NEXT) | instid1(VALU_DEP_2)
	v_mul_f64 v[14:15], v[2:3], v[14:15]
	v_fma_f64 v[51:52], v[2:3], v[20:21], v[12:13]
	s_clause 0x1
	scratch_load_b64 v[2:3], off, off offset:476
	scratch_load_b64 v[12:13], off, off offset:468
	v_fma_f64 v[49:50], v[0:1], v[20:21], -v[14:15]
	s_clause 0x2
	scratch_load_b64 v[0:1], off, off offset:460
	scratch_load_b64 v[14:15], off, off offset:452
	;; [unrolled: 1-line block ×3, first 2 shown]
	s_waitcnt vmcnt(4)
	v_fma_f64 v[2:3], v[126:127], s[30:31], -v[2:3]
	s_waitcnt vmcnt(3)
	v_fma_f64 v[12:13], v[128:129], s[36:37], -v[12:13]
	s_waitcnt vmcnt(2)
	v_fma_f64 v[0:1], v[124:125], s[38:39], v[0:1]
	s_waitcnt vmcnt(1)
	v_fma_f64 v[14:15], v[122:123], s[42:43], v[14:15]
	s_delay_alu instid0(VALU_DEP_4) | instskip(NEXT) | instid1(VALU_DEP_3)
	v_add_f64 v[2:3], v[33:34], v[2:3]
	v_add_f64 v[0:1], v[35:36], v[0:1]
	s_delay_alu instid0(VALU_DEP_2)
	v_add_f64 v[2:3], v[12:13], v[2:3]
	scratch_load_b64 v[12:13], off, off offset:492 ; 8-byte Folded Reload
	v_add_f64 v[0:1], v[14:15], v[0:1]
	scratch_load_b64 v[14:15], off, off offset:516 ; 8-byte Folded Reload
	;; [unrolled: 2-line block ×3, first 2 shown]
	s_waitcnt vmcnt(2)
	v_fma_f64 v[12:13], v[134:135], s[40:41], v[12:13]
	s_waitcnt vmcnt(1)
	v_fma_f64 v[14:15], v[138:139], s[24:25], -v[14:15]
	s_waitcnt vmcnt(0)
	v_fma_f64 v[22:23], v[144:145], s[16:17], -v[22:23]
	s_delay_alu instid0(VALU_DEP_2)
	v_add_f64 v[2:3], v[14:15], v[2:3]
	scratch_load_b64 v[14:15], off, off offset:548 ; 8-byte Folded Reload
	v_add_f64 v[2:3], v[22:23], v[2:3]
	scratch_load_b64 v[22:23], off, off offset:564 ; 8-byte Folded Reload
	s_waitcnt vmcnt(1)
	v_fma_f64 v[14:15], v[148:149], s[0:1], -v[14:15]
	s_mul_i32 s0, s62, s20
	s_delay_alu instid0(SALU_CYCLE_1) | instskip(NEXT) | instid1(VALU_DEP_1)
	s_add_i32 s0, s0, s5
	v_add_f64 v[2:3], v[14:15], v[2:3]
	scratch_load_b64 v[14:15], off, off offset:556 ; 8-byte Folded Reload
	s_waitcnt vmcnt(1)
	v_fma_f64 v[22:23], v[152:153], s[14:15], -v[22:23]
	s_delay_alu instid0(VALU_DEP_1) | instskip(SKIP_3) | instid1(VALU_DEP_1)
	v_add_f64 v[2:3], v[22:23], v[2:3]
	v_mul_lo_u32 v23, s6, v105
	s_waitcnt vmcnt(0)
	v_fma_f64 v[14:15], v[154:155], s[12:13], -v[14:15]
	v_add_f64 v[2:3], v[14:15], v[2:3]
	scratch_load_b64 v[14:15], off, off offset:124 ; 8-byte Folded Reload
	v_fma_f64 v[20:21], v[130:131], s[44:45], v[20:21]
	s_delay_alu instid0(VALU_DEP_1)
	v_add_f64 v[0:1], v[20:21], v[0:1]
	scratch_load_b64 v[20:21], off, off offset:508 ; 8-byte Folded Reload
	v_add_f64 v[0:1], v[12:13], v[0:1]
	scratch_load_b64 v[12:13], off, off offset:524 ; 8-byte Folded Reload
	s_waitcnt vmcnt(1)
	v_fma_f64 v[20:21], v[140:141], s[18:19], v[20:21]
	s_delay_alu instid0(VALU_DEP_1) | instskip(SKIP_3) | instid1(VALU_DEP_1)
	v_add_f64 v[0:1], v[20:21], v[0:1]
	scratch_load_b64 v[20:21], off, off offset:540 ; 8-byte Folded Reload
	s_waitcnt vmcnt(1)
	v_fma_f64 v[12:13], v[146:147], s[10:11], v[12:13]
	v_add_f64 v[0:1], v[12:13], v[0:1]
	scratch_load_b64 v[12:13], off, off offset:588 ; 8-byte Folded Reload
	s_waitcnt vmcnt(1)
	v_fma_f64 v[20:21], v[150:151], s[26:27], v[20:21]
	s_delay_alu instid0(VALU_DEP_1) | instskip(SKIP_3) | instid1(VALU_DEP_1)
	v_add_f64 v[0:1], v[20:21], v[0:1]
	scratch_load_b64 v[20:21], off, off offset:116 ; 8-byte Folded Reload
	s_waitcnt vmcnt(1)
	v_fma_f64 v[12:13], v[156:157], s[28:29], v[12:13]
	v_add_f64 v[0:1], v[12:13], v[0:1]
	v_mul_f64 v[12:13], v[2:3], v[14:15]
	s_delay_alu instid0(VALU_DEP_2) | instskip(SKIP_1) | instid1(VALU_DEP_2)
	v_mul_f64 v[14:15], v[0:1], v[14:15]
	s_waitcnt vmcnt(0)
	v_fma_f64 v[35:36], v[0:1], v[20:21], v[12:13]
	v_dual_mov_b32 v1, 0 :: v_dual_and_b32 v0, 0xffff, v32
	s_delay_alu instid0(VALU_DEP_3) | instskip(NEXT) | instid1(VALU_DEP_2)
	v_fma_f64 v[33:34], v[2:3], v[20:21], -v[14:15]
	v_mul_u32_u24_e32 v0, 0x227, v0
	s_delay_alu instid0(VALU_DEP_1) | instskip(NEXT) | instid1(VALU_DEP_1)
	v_lshrrev_b32_e32 v0, 16, v0
	v_mul_lo_u16 v0, 0x121, v0
	s_delay_alu instid0(VALU_DEP_1) | instskip(NEXT) | instid1(VALU_DEP_1)
	v_and_b32_e32 v0, 0xffff, v0
	v_add_nc_u32_e32 v22, v90, v0
	s_delay_alu instid0(VALU_DEP_1) | instskip(SKIP_4) | instid1(VALU_DEP_4)
	v_mul_lo_u32 v0, s4, v22
	v_add_nc_u32_e32 v12, 0x44, v22
	v_add_nc_u32_e32 v13, 0x55, v22
	;; [unrolled: 1-line block ×4, first 2 shown]
	v_mul_lo_u32 v12, s4, v12
	s_delay_alu instid0(VALU_DEP_4) | instskip(SKIP_1) | instid1(VALU_DEP_4)
	v_mul_lo_u32 v14, s4, v13
	v_add3_u32 v0, v23, v0, s0
	v_mul_lo_u32 v25, s4, v25
	s_delay_alu instid0(VALU_DEP_2) | instskip(SKIP_1) | instid1(VALU_DEP_1)
	v_lshlrev_b64 v[2:3], 4, v[0:1]
	v_add_nc_u32_e32 v0, 17, v22
	v_mul_lo_u32 v0, s4, v0
	s_delay_alu instid0(VALU_DEP_3) | instskip(NEXT) | instid1(VALU_DEP_4)
	v_add_co_u32 v2, vcc_lo, s2, v2
	v_add_co_ci_u32_e32 v3, vcc_lo, s3, v3, vcc_lo
	s_delay_alu instid0(VALU_DEP_3) | instskip(SKIP_3) | instid1(VALU_DEP_1)
	v_add3_u32 v0, v23, v0, s0
	global_store_b128 v[2:3], v[49:52], off
	v_lshlrev_b64 v[2:3], 4, v[0:1]
	v_add_nc_u32_e32 v0, 34, v22
	v_mul_lo_u32 v0, s4, v0
	s_delay_alu instid0(VALU_DEP_3) | instskip(NEXT) | instid1(VALU_DEP_4)
	v_add_co_u32 v2, vcc_lo, s2, v2
	v_add_co_ci_u32_e32 v3, vcc_lo, s3, v3, vcc_lo
	s_delay_alu instid0(VALU_DEP_3) | instskip(SKIP_3) | instid1(VALU_DEP_1)
	v_add3_u32 v0, v23, v0, s0
	global_store_b128 v[2:3], v[162:165], off
	;; [unrolled: 9-line block ×3, first 2 shown]
	v_lshlrev_b64 v[2:3], 4, v[0:1]
	v_add3_u32 v0, v23, v12, s0
	v_lshlrev_b64 v[12:13], 4, v[0:1]
	v_add3_u32 v0, v23, v14, s0
	v_mul_lo_u32 v14, s4, v15
	v_add_nc_u32_e32 v15, 0x77, v22
	v_add_co_u32 v2, vcc_lo, s2, v2
	v_add_co_ci_u32_e32 v3, vcc_lo, s3, v3, vcc_lo
	s_delay_alu instid0(VALU_DEP_3)
	v_mul_lo_u32 v20, s4, v15
	v_add_co_u32 v12, vcc_lo, s2, v12
	global_store_b128 v[2:3], v[33:36], off
	v_lshlrev_b64 v[2:3], 4, v[0:1]
	v_add3_u32 v0, v23, v14, s0
	v_add_nc_u32_e32 v14, 0x88, v22
	v_add_co_ci_u32_e32 v13, vcc_lo, s3, v13, vcc_lo
	s_delay_alu instid0(VALU_DEP_4) | instskip(NEXT) | instid1(VALU_DEP_3)
	v_add_co_u32 v2, vcc_lo, s2, v2
	v_mul_lo_u32 v21, s4, v14
	v_lshlrev_b64 v[14:15], 4, v[0:1]
	v_add3_u32 v0, v23, v20, s0
	v_add_nc_u32_e32 v20, 0x99, v22
	v_add_co_ci_u32_e32 v3, vcc_lo, s3, v3, vcc_lo
	s_clause 0x1
	global_store_b128 v[12:13], v[202:205], off
	global_store_b128 v[2:3], v[158:161], off
	v_mul_lo_u32 v20, s4, v20
	v_lshlrev_b64 v[2:3], 4, v[0:1]
	v_add3_u32 v0, v23, v21, s0
	v_add_co_u32 v12, vcc_lo, s2, v14
	v_add_co_ci_u32_e32 v13, vcc_lo, s3, v15, vcc_lo
	s_delay_alu instid0(VALU_DEP_3) | instskip(SKIP_4) | instid1(VALU_DEP_4)
	v_lshlrev_b64 v[14:15], 4, v[0:1]
	v_add_nc_u32_e32 v21, 0xaa, v22
	v_add3_u32 v0, v23, v20, s0
	v_add_co_u32 v2, vcc_lo, s2, v2
	v_add_co_ci_u32_e32 v3, vcc_lo, s3, v3, vcc_lo
	v_mul_lo_u32 v24, s4, v21
	s_delay_alu instid0(VALU_DEP_4)
	v_lshlrev_b64 v[20:21], 4, v[0:1]
	v_add_co_u32 v14, vcc_lo, s2, v14
	v_add_co_ci_u32_e32 v15, vcc_lo, s3, v15, vcc_lo
	s_clause 0x2
	global_store_b128 v[12:13], v[170:173], off
	global_store_b128 v[2:3], v[86:89], off
	;; [unrolled: 1-line block ×3, first 2 shown]
	v_add_co_u32 v8, vcc_lo, s2, v20
	v_add_co_ci_u32_e32 v9, vcc_lo, s3, v21, vcc_lo
	v_add3_u32 v0, v23, v24, s0
	v_add_nc_u32_e32 v24, 0xcc, v22
	v_add_nc_u32_e32 v13, 0xdd, v22
	global_store_b128 v[8:9], v[4:7], off
	scratch_load_b128 v[5:8], off, off offset:100 ; 16-byte Folded Reload
	v_lshlrev_b64 v[2:3], 4, v[0:1]
	v_mul_lo_u32 v12, s4, v24
	v_add3_u32 v0, v23, v25, s0
	v_mul_lo_u32 v14, s4, v13
	v_add_nc_u32_e32 v4, 0xff, v22
	v_add_co_u32 v2, vcc_lo, s2, v2
	s_delay_alu instid0(VALU_DEP_4) | instskip(SKIP_3) | instid1(VALU_DEP_4)
	v_lshlrev_b64 v[10:11], 4, v[0:1]
	v_add3_u32 v0, v23, v12, s0
	v_add_nc_u32_e32 v12, 0xee, v22
	v_add_co_ci_u32_e32 v3, vcc_lo, s3, v3, vcc_lo
	v_add_co_u32 v10, vcc_lo, s2, v10
	v_add_co_ci_u32_e32 v11, vcc_lo, s3, v11, vcc_lo
	s_delay_alu instid0(VALU_DEP_4)
	v_mul_lo_u32 v15, s4, v12
	v_lshlrev_b64 v[12:13], 4, v[0:1]
	v_add3_u32 v0, v23, v14, s0
	global_store_b128 v[2:3], v[16:19], off
	v_lshlrev_b64 v[2:3], 4, v[0:1]
	v_add3_u32 v0, v23, v15, s0
	s_waitcnt vmcnt(0)
	global_store_b128 v[10:11], v[5:8], off
	v_mul_lo_u32 v8, s4, v4
	v_add_nc_u32_e32 v6, 0x110, v22
	v_add_co_u32 v4, vcc_lo, s2, v12
	v_add_co_ci_u32_e32 v5, vcc_lo, s3, v13, vcc_lo
	s_delay_alu instid0(VALU_DEP_3) | instskip(SKIP_4) | instid1(VALU_DEP_3)
	v_mul_lo_u32 v10, s4, v6
	v_lshlrev_b64 v[6:7], 4, v[0:1]
	v_add3_u32 v0, v23, v8, s0
	v_add_co_u32 v2, vcc_lo, s2, v2
	v_add_co_ci_u32_e32 v3, vcc_lo, s3, v3, vcc_lo
	v_lshlrev_b64 v[8:9], 4, v[0:1]
	v_add3_u32 v0, v23, v10, s0
	scratch_load_b128 v[10:13], off, off offset:84 ; 16-byte Folded Reload
	v_add_co_u32 v6, vcc_lo, s2, v6
	v_add_co_ci_u32_e32 v7, vcc_lo, s3, v7, vcc_lo
	v_add_co_u32 v8, vcc_lo, s2, v8
	v_add_co_ci_u32_e32 v9, vcc_lo, s3, v9, vcc_lo
	v_lshlrev_b64 v[0:1], 4, v[0:1]
	s_delay_alu instid0(VALU_DEP_1) | instskip(NEXT) | instid1(VALU_DEP_2)
	v_add_co_u32 v0, vcc_lo, s2, v0
	v_add_co_ci_u32_e32 v1, vcc_lo, s3, v1, vcc_lo
	s_waitcnt vmcnt(0)
	global_store_b128 v[4:5], v[10:13], off
	scratch_load_b128 v[10:13], off, off offset:52 ; 16-byte Folded Reload
	s_waitcnt vmcnt(0)
	global_store_b128 v[2:3], v[10:13], off
	scratch_load_b128 v[2:5], off, off offset:36 ; 16-byte Folded Reload
	;; [unrolled: 3-line block ×4, first 2 shown]
	s_waitcnt vmcnt(0)
	global_store_b128 v[0:1], v[2:5], off
.LBB0_48:
	s_endpgm
	.section	.rodata,"a",@progbits
	.p2align	6, 0x0
	.amdhsa_kernel fft_rtc_fwd_len289_factors_17_17_wgs_119_tpt_17_dp_op_CI_CI_sbcc_twdbase8_2step_dirReg_intrinsicReadWrite
		.amdhsa_group_segment_fixed_size 0
		.amdhsa_private_segment_fixed_size 720
		.amdhsa_kernarg_size 112
		.amdhsa_user_sgpr_count 15
		.amdhsa_user_sgpr_dispatch_ptr 0
		.amdhsa_user_sgpr_queue_ptr 0
		.amdhsa_user_sgpr_kernarg_segment_ptr 1
		.amdhsa_user_sgpr_dispatch_id 0
		.amdhsa_user_sgpr_private_segment_size 0
		.amdhsa_wavefront_size32 1
		.amdhsa_uses_dynamic_stack 0
		.amdhsa_enable_private_segment 1
		.amdhsa_system_sgpr_workgroup_id_x 1
		.amdhsa_system_sgpr_workgroup_id_y 0
		.amdhsa_system_sgpr_workgroup_id_z 0
		.amdhsa_system_sgpr_workgroup_info 0
		.amdhsa_system_vgpr_workitem_id 0
		.amdhsa_next_free_vgpr 256
		.amdhsa_next_free_sgpr 64
		.amdhsa_reserve_vcc 1
		.amdhsa_float_round_mode_32 0
		.amdhsa_float_round_mode_16_64 0
		.amdhsa_float_denorm_mode_32 3
		.amdhsa_float_denorm_mode_16_64 3
		.amdhsa_dx10_clamp 1
		.amdhsa_ieee_mode 1
		.amdhsa_fp16_overflow 0
		.amdhsa_workgroup_processor_mode 1
		.amdhsa_memory_ordered 1
		.amdhsa_forward_progress 0
		.amdhsa_shared_vgpr_count 0
		.amdhsa_exception_fp_ieee_invalid_op 0
		.amdhsa_exception_fp_denorm_src 0
		.amdhsa_exception_fp_ieee_div_zero 0
		.amdhsa_exception_fp_ieee_overflow 0
		.amdhsa_exception_fp_ieee_underflow 0
		.amdhsa_exception_fp_ieee_inexact 0
		.amdhsa_exception_int_div_zero 0
	.end_amdhsa_kernel
	.text
.Lfunc_end0:
	.size	fft_rtc_fwd_len289_factors_17_17_wgs_119_tpt_17_dp_op_CI_CI_sbcc_twdbase8_2step_dirReg_intrinsicReadWrite, .Lfunc_end0-fft_rtc_fwd_len289_factors_17_17_wgs_119_tpt_17_dp_op_CI_CI_sbcc_twdbase8_2step_dirReg_intrinsicReadWrite
                                        ; -- End function
	.section	.AMDGPU.csdata,"",@progbits
; Kernel info:
; codeLenInByte = 23212
; NumSgprs: 66
; NumVgprs: 256
; ScratchSize: 720
; MemoryBound: 0
; FloatMode: 240
; IeeeMode: 1
; LDSByteSize: 0 bytes/workgroup (compile time only)
; SGPRBlocks: 8
; VGPRBlocks: 31
; NumSGPRsForWavesPerEU: 66
; NumVGPRsForWavesPerEU: 256
; Occupancy: 5
; WaveLimiterHint : 1
; COMPUTE_PGM_RSRC2:SCRATCH_EN: 1
; COMPUTE_PGM_RSRC2:USER_SGPR: 15
; COMPUTE_PGM_RSRC2:TRAP_HANDLER: 0
; COMPUTE_PGM_RSRC2:TGID_X_EN: 1
; COMPUTE_PGM_RSRC2:TGID_Y_EN: 0
; COMPUTE_PGM_RSRC2:TGID_Z_EN: 0
; COMPUTE_PGM_RSRC2:TIDIG_COMP_CNT: 0
	.text
	.p2alignl 7, 3214868480
	.fill 96, 4, 3214868480
	.type	__hip_cuid_2ef9abcbdfc91095,@object ; @__hip_cuid_2ef9abcbdfc91095
	.section	.bss,"aw",@nobits
	.globl	__hip_cuid_2ef9abcbdfc91095
__hip_cuid_2ef9abcbdfc91095:
	.byte	0                               ; 0x0
	.size	__hip_cuid_2ef9abcbdfc91095, 1

	.ident	"AMD clang version 19.0.0git (https://github.com/RadeonOpenCompute/llvm-project roc-6.4.0 25133 c7fe45cf4b819c5991fe208aaa96edf142730f1d)"
	.section	".note.GNU-stack","",@progbits
	.addrsig
	.addrsig_sym __hip_cuid_2ef9abcbdfc91095
	.amdgpu_metadata
---
amdhsa.kernels:
  - .args:
      - .actual_access:  read_only
        .address_space:  global
        .offset:         0
        .size:           8
        .value_kind:     global_buffer
      - .address_space:  global
        .offset:         8
        .size:           8
        .value_kind:     global_buffer
      - .offset:         16
        .size:           8
        .value_kind:     by_value
      - .actual_access:  read_only
        .address_space:  global
        .offset:         24
        .size:           8
        .value_kind:     global_buffer
      - .actual_access:  read_only
        .address_space:  global
        .offset:         32
        .size:           8
        .value_kind:     global_buffer
      - .actual_access:  read_only
        .address_space:  global
        .offset:         40
        .size:           8
        .value_kind:     global_buffer
      - .offset:         48
        .size:           8
        .value_kind:     by_value
      - .actual_access:  read_only
        .address_space:  global
        .offset:         56
        .size:           8
        .value_kind:     global_buffer
      - .actual_access:  read_only
        .address_space:  global
        .offset:         64
        .size:           8
        .value_kind:     global_buffer
      - .offset:         72
        .size:           4
        .value_kind:     by_value
      - .actual_access:  read_only
        .address_space:  global
        .offset:         80
        .size:           8
        .value_kind:     global_buffer
      - .actual_access:  read_only
        .address_space:  global
        .offset:         88
        .size:           8
        .value_kind:     global_buffer
      - .actual_access:  read_only
        .address_space:  global
        .offset:         96
        .size:           8
        .value_kind:     global_buffer
      - .actual_access:  write_only
        .address_space:  global
        .offset:         104
        .size:           8
        .value_kind:     global_buffer
    .group_segment_fixed_size: 0
    .kernarg_segment_align: 8
    .kernarg_segment_size: 112
    .language:       OpenCL C
    .language_version:
      - 2
      - 0
    .max_flat_workgroup_size: 119
    .name:           fft_rtc_fwd_len289_factors_17_17_wgs_119_tpt_17_dp_op_CI_CI_sbcc_twdbase8_2step_dirReg_intrinsicReadWrite
    .private_segment_fixed_size: 720
    .sgpr_count:     66
    .sgpr_spill_count: 0
    .symbol:         fft_rtc_fwd_len289_factors_17_17_wgs_119_tpt_17_dp_op_CI_CI_sbcc_twdbase8_2step_dirReg_intrinsicReadWrite.kd
    .uniform_work_group_size: 1
    .uses_dynamic_stack: false
    .vgpr_count:     256
    .vgpr_spill_count: 221
    .wavefront_size: 32
    .workgroup_processor_mode: 1
amdhsa.target:   amdgcn-amd-amdhsa--gfx1100
amdhsa.version:
  - 1
  - 2
...

	.end_amdgpu_metadata
